;; amdgpu-corpus repo=ROCm/rocFFT kind=compiled arch=gfx1100 opt=O3
	.text
	.amdgcn_target "amdgcn-amd-amdhsa--gfx1100"
	.amdhsa_code_object_version 6
	.protected	bluestein_single_back_len1071_dim1_dp_op_CI_CI ; -- Begin function bluestein_single_back_len1071_dim1_dp_op_CI_CI
	.globl	bluestein_single_back_len1071_dim1_dp_op_CI_CI
	.p2align	8
	.type	bluestein_single_back_len1071_dim1_dp_op_CI_CI,@function
bluestein_single_back_len1071_dim1_dp_op_CI_CI: ; @bluestein_single_back_len1071_dim1_dp_op_CI_CI
; %bb.0:
	s_load_b128 s[4:7], s[0:1], 0x28
	v_mul_u32_u24_e32 v1, 0x227, v0
	s_mov_b32 s2, exec_lo
	v_mov_b32_e32 v4, 0
	s_delay_alu instid0(VALU_DEP_2) | instskip(NEXT) | instid1(VALU_DEP_1)
	v_lshrrev_b32_e32 v1, 16, v1
	v_add_nc_u32_e32 v3, s15, v1
	s_delay_alu instid0(VALU_DEP_1)
	v_mov_b32_e32 v2, v3
	scratch_store_b64 off, v[2:3], off offset:4 ; 8-byte Folded Spill
	s_waitcnt lgkmcnt(0)
	v_cmpx_gt_u64_e64 s[4:5], v[3:4]
	s_cbranch_execz .LBB0_23
; %bb.1:
	s_clause 0x1
	s_load_b64 s[12:13], s[0:1], 0x0
	s_load_b64 s[14:15], s[0:1], 0x38
	v_mul_lo_u16 v1, 0x77, v1
	s_delay_alu instid0(VALU_DEP_1) | instskip(NEXT) | instid1(VALU_DEP_1)
	v_sub_nc_u16 v0, v0, v1
	v_and_b32_e32 v1, 0xffff, v0
	v_cmp_gt_u16_e32 vcc_lo, 63, v0
	s_delay_alu instid0(VALU_DEP_2)
	v_lshlrev_b32_e32 v255, 4, v1
	scratch_store_b32 off, v1, off          ; 4-byte Folded Spill
	s_and_saveexec_b32 s3, vcc_lo
	s_cbranch_execz .LBB0_3
; %bb.2:
	scratch_load_b64 v[0:1], off, off offset:4 ; 8-byte Folded Reload
	s_load_b64 s[4:5], s[0:1], 0x18
	s_waitcnt lgkmcnt(0)
	v_add_co_u32 v23, s2, s12, v255
	s_delay_alu instid0(VALU_DEP_1) | instskip(NEXT) | instid1(VALU_DEP_2)
	v_add_co_ci_u32_e64 v24, null, s13, 0, s2
	v_add_co_u32 v32, s2, 0x1000, v23
	s_delay_alu instid0(VALU_DEP_1) | instskip(SKIP_1) | instid1(VALU_DEP_1)
	v_add_co_ci_u32_e64 v33, s2, 0, v24, s2
	v_add_co_u32 v48, s2, 0x2000, v23
	v_add_co_ci_u32_e64 v49, s2, 0, v24, s2
	v_add_co_u32 v128, s2, 0x3000, v23
	s_delay_alu instid0(VALU_DEP_1) | instskip(SKIP_4) | instid1(SALU_CYCLE_1)
	v_add_co_ci_u32_e64 v129, s2, 0, v24, s2
	s_load_b128 s[8:11], s[4:5], 0x0
	s_waitcnt lgkmcnt(0)
	s_mul_i32 s4, s9, 0x3f0
	s_mul_hi_u32 s5, s8, 0x3f0
	s_add_i32 s5, s5, s4
	s_waitcnt vmcnt(0)
	v_mov_b32_e32 v25, v0
	s_clause 0x4
	global_load_b128 v[0:3], v255, s[12:13]
	global_load_b128 v[4:7], v255, s[12:13] offset:1008
	global_load_b128 v[8:11], v255, s[12:13] offset:2016
	;; [unrolled: 1-line block ×4, first 2 shown]
	scratch_load_b32 v26, off, off          ; 4-byte Folded Reload
	v_mad_u64_u32 v[28:29], null, s10, v25, 0
	s_delay_alu instid0(VALU_DEP_1) | instskip(NEXT) | instid1(VALU_DEP_1)
	v_mov_b32_e32 v20, v29
	v_mad_u64_u32 v[21:22], null, s11, v25, v[20:21]
	s_delay_alu instid0(VALU_DEP_1) | instskip(NEXT) | instid1(VALU_DEP_1)
	v_mov_b32_e32 v29, v21
	v_lshlrev_b64 v[38:39], 4, v[28:29]
	s_delay_alu instid0(VALU_DEP_1) | instskip(NEXT) | instid1(VALU_DEP_1)
	v_add_co_u32 v38, s2, s6, v38
	v_add_co_ci_u32_e64 v39, s2, s7, v39, s2
	s_mul_i32 s6, s8, 0x3f0
	s_waitcnt vmcnt(0)
	v_mad_u64_u32 v[36:37], null, s8, v26, 0
	s_delay_alu instid0(VALU_DEP_1) | instskip(NEXT) | instid1(VALU_DEP_1)
	v_mov_b32_e32 v20, v37
	v_mad_u64_u32 v[30:31], null, s9, v26, v[20:21]
	s_clause 0x1
	global_load_b128 v[20:23], v[32:33], off offset:944
	global_load_b128 v[24:27], v[32:33], off offset:1952
	v_mov_b32_e32 v37, v30
	s_clause 0x1
	global_load_b128 v[28:31], v[32:33], off offset:2960
	global_load_b128 v[32:35], v[32:33], off offset:3968
	v_lshlrev_b64 v[36:37], 4, v[36:37]
	s_delay_alu instid0(VALU_DEP_1) | instskip(NEXT) | instid1(VALU_DEP_1)
	v_add_co_u32 v60, s2, v38, v36
	v_add_co_ci_u32_e64 v61, s2, v39, v37, s2
	s_clause 0x1
	global_load_b128 v[36:39], v[48:49], off offset:880
	global_load_b128 v[40:43], v[48:49], off offset:1888
	v_add_co_u32 v64, s2, v60, s6
	s_delay_alu instid0(VALU_DEP_1) | instskip(SKIP_4) | instid1(VALU_DEP_1)
	v_add_co_ci_u32_e64 v65, s2, s5, v61, s2
	s_clause 0x1
	global_load_b128 v[44:47], v[48:49], off offset:2896
	global_load_b128 v[48:51], v[48:49], off offset:3904
	v_add_co_u32 v68, s2, v64, s6
	v_add_co_ci_u32_e64 v69, s2, s5, v65, s2
	s_clause 0x1
	global_load_b128 v[52:55], v[128:129], off offset:816
	global_load_b128 v[56:59], v[128:129], off offset:1824
	v_add_co_u32 v72, s2, v68, s6
	s_delay_alu instid0(VALU_DEP_1) | instskip(SKIP_4) | instid1(VALU_DEP_1)
	v_add_co_ci_u32_e64 v73, s2, s5, v69, s2
	s_clause 0x1
	global_load_b128 v[60:63], v[60:61], off
	global_load_b128 v[64:67], v[64:65], off
	v_add_co_u32 v76, s2, v72, s6
	v_add_co_ci_u32_e64 v77, s2, s5, v73, s2
	s_clause 0x1
	global_load_b128 v[68:71], v[68:69], off
	global_load_b128 v[72:75], v[72:73], off
	v_add_co_u32 v80, s2, v76, s6
	s_delay_alu instid0(VALU_DEP_1) | instskip(SKIP_2) | instid1(VALU_DEP_1)
	v_add_co_ci_u32_e64 v81, s2, s5, v77, s2
	global_load_b128 v[76:79], v[76:77], off
	v_add_co_u32 v84, s2, v80, s6
	v_add_co_ci_u32_e64 v85, s2, s5, v81, s2
	global_load_b128 v[80:83], v[80:81], off
	v_add_co_u32 v88, s2, v84, s6
	s_delay_alu instid0(VALU_DEP_1) | instskip(SKIP_2) | instid1(VALU_DEP_1)
	v_add_co_ci_u32_e64 v89, s2, s5, v85, s2
	global_load_b128 v[84:87], v[84:85], off
	v_add_co_u32 v92, s2, v88, s6
	v_add_co_ci_u32_e64 v93, s2, s5, v89, s2
	;; [unrolled: 7-line block ×5, first 2 shown]
	global_load_b128 v[112:115], v[112:113], off
	v_add_co_u32 v120, s2, v116, s6
	s_delay_alu instid0(VALU_DEP_1) | instskip(NEXT) | instid1(VALU_DEP_2)
	v_add_co_ci_u32_e64 v121, s2, s5, v117, s2
	v_add_co_u32 v132, s2, v120, s6
	s_delay_alu instid0(VALU_DEP_1)
	v_add_co_ci_u32_e64 v133, s2, s5, v121, s2
	global_load_b128 v[116:119], v[116:117], off
	global_load_b128 v[120:123], v[120:121], off
	s_clause 0x1
	global_load_b128 v[124:127], v[128:129], off offset:2832
	global_load_b128 v[128:131], v[128:129], off offset:3840
	global_load_b128 v[132:135], v[132:133], off
	s_waitcnt vmcnt(18)
	v_mul_f64 v[136:137], v[62:63], v[2:3]
	v_mul_f64 v[2:3], v[60:61], v[2:3]
	s_waitcnt vmcnt(17)
	v_mul_f64 v[138:139], v[66:67], v[6:7]
	v_mul_f64 v[6:7], v[64:65], v[6:7]
	;; [unrolled: 3-line block ×17, first 2 shown]
	v_fma_f64 v[58:59], v[60:61], v[0:1], v[136:137]
	v_fma_f64 v[60:61], v[62:63], v[0:1], -v[2:3]
	v_fma_f64 v[0:1], v[64:65], v[4:5], v[138:139]
	v_fma_f64 v[2:3], v[66:67], v[4:5], -v[6:7]
	;; [unrolled: 2-line block ×17, first 2 shown]
	ds_store_b128 v255, v[58:61]
	ds_store_b128 v255, v[0:3] offset:1008
	ds_store_b128 v255, v[4:7] offset:2016
	;; [unrolled: 1-line block ×16, first 2 shown]
.LBB0_3:
	s_or_b32 exec_lo, exec_lo, s3
	s_waitcnt lgkmcnt(0)
	s_waitcnt_vscnt null, 0x0
	s_barrier
	buffer_gl0_inv
                                        ; implicit-def: $vgpr12_vgpr13
                                        ; implicit-def: $vgpr40_vgpr41
                                        ; implicit-def: $vgpr44_vgpr45
                                        ; implicit-def: $vgpr48_vgpr49
                                        ; implicit-def: $vgpr52_vgpr53
                                        ; implicit-def: $vgpr56_vgpr57
                                        ; implicit-def: $vgpr60_vgpr61
                                        ; implicit-def: $vgpr68_vgpr69
                                        ; implicit-def: $vgpr72_vgpr73
                                        ; implicit-def: $vgpr76_vgpr77
                                        ; implicit-def: $vgpr64_vgpr65
                                        ; implicit-def: $vgpr36_vgpr37
                                        ; implicit-def: $vgpr32_vgpr33
                                        ; implicit-def: $vgpr28_vgpr29
                                        ; implicit-def: $vgpr24_vgpr25
                                        ; implicit-def: $vgpr20_vgpr21
                                        ; implicit-def: $vgpr16_vgpr17
	s_and_saveexec_b32 s2, vcc_lo
	s_cbranch_execz .LBB0_5
; %bb.4:
	ds_load_b128 v[12:15], v255
	ds_load_b128 v[40:43], v255 offset:1008
	ds_load_b128 v[44:47], v255 offset:2016
	;; [unrolled: 1-line block ×16, first 2 shown]
.LBB0_5:
	s_or_b32 exec_lo, exec_lo, s2
	s_waitcnt lgkmcnt(0)
	v_add_f64 v[2:3], v[42:43], -v[18:19]
	s_mov_b32 s38, 0x5d8e7cdc
	s_mov_b32 s39, 0xbfd71e95
	v_add_f64 v[112:113], v[40:41], v[16:17]
	v_add_f64 v[0:1], v[40:41], -v[16:17]
	v_add_f64 v[118:119], v[46:47], -v[22:23]
	s_clause 0x1
	s_load_b64 s[4:5], s[0:1], 0x20
	s_load_b64 s[2:3], s[0:1], 0x8
	s_mov_b32 s0, 0x370991
	s_mov_b32 s46, 0x2a9d6da3
	;; [unrolled: 1-line block ×4, first 2 shown]
	v_add_f64 v[114:115], v[42:43], v[18:19]
	v_add_f64 v[108:109], v[44:45], v[20:21]
	v_add_f64 v[116:117], v[44:45], -v[20:21]
	s_mov_b32 s6, 0x75d4884
	s_mov_b32 s7, 0x3fe7a5f6
	v_add_f64 v[110:111], v[46:47], v[22:23]
	s_mov_b32 s42, 0xeb564b22
	s_mov_b32 s43, 0xbfefdd0d
	;; [unrolled: 1-line block ×21, first 2 shown]
	v_mul_f64 v[4:5], v[2:3], s[38:39]
	v_mul_f64 v[8:9], v[2:3], s[46:47]
	;; [unrolled: 1-line block ×10, first 2 shown]
	s_mov_b32 s31, 0xbfe0d888
	s_mov_b32 s51, 0x3fe0d888
	;; [unrolled: 1-line block ×3, first 2 shown]
	v_mul_f64 v[122:123], v[116:117], s[46:47]
	v_mul_f64 v[90:91], v[0:1], s[24:25]
	s_mov_b32 s20, 0x910ea3b9
	s_mov_b32 s21, 0xbfeb34fa
	v_mul_f64 v[92:93], v[2:3], s[26:27]
	s_mov_b32 s49, 0x3feec746
	s_mov_b32 s48, s24
	v_mul_f64 v[94:95], v[0:1], s[26:27]
	v_mul_f64 v[96:97], v[2:3], s[30:31]
	s_mov_b32 s29, 0x3feca52d
	s_mov_b32 s28, s36
	v_mul_f64 v[100:101], v[0:1], s[30:31]
	;; [unrolled: 4-line block ×3, first 2 shown]
	v_add_f64 v[144:145], v[48:49], v[24:25]
	v_add_f64 v[148:149], v[50:51], v[26:27]
	s_mov_b32 s41, 0x3fc7851a
	s_mov_b32 s40, s34
	v_add_f64 v[172:173], v[52:53], v[28:29]
	v_add_f64 v[177:178], v[54:55], v[30:31]
	s_mov_b32 s53, 0x3fe9895b
	s_mov_b32 s52, s26
	v_add_f64 v[201:202], v[56:57], v[32:33]
	scratch_store_b64 off, v[4:5], off offset:16 ; 8-byte Folded Spill
	v_fma_f64 v[4:5], v[112:113], s[0:1], v[4:5]
	scratch_store_b64 off, v[8:9], off offset:32 ; 8-byte Folded Spill
	v_fma_f64 v[8:9], v[112:113], s[6:7], v[8:9]
	scratch_store_b64 off, v[6:7], off offset:24 ; 8-byte Folded Spill
	v_fma_f64 v[6:7], v[114:115], s[0:1], -v[6:7]
	scratch_store_b64 off, v[120:121], off offset:144 ; 8-byte Folded Spill
	v_fma_f64 v[120:121], v[108:109], s[6:7], v[120:121]
	scratch_store_b64 off, v[10:11], off offset:48 ; 8-byte Folded Spill
	v_fma_f64 v[10:11], v[114:115], s[6:7], -v[10:11]
	s_clause 0x3
	scratch_store_b64 off, v[80:81], off offset:64
	scratch_store_b64 off, v[82:83], off offset:80
	scratch_store_b64 off, v[84:85], off offset:96
	scratch_store_b64 off, v[86:87], off offset:104
	v_fma_f64 v[80:81], v[112:113], s[8:9], v[80:81]
	v_fma_f64 v[82:83], v[114:115], s[8:9], -v[82:83]
	v_fma_f64 v[84:85], v[112:113], s[10:11], v[84:85]
	v_fma_f64 v[86:87], v[114:115], s[10:11], -v[86:87]
	s_clause 0x3
	scratch_store_b64 off, v[88:89], off offset:112
	scratch_store_b64 off, v[90:91], off offset:120
	;; [unrolled: 1-line block ×4, first 2 shown]
	v_fma_f64 v[88:89], v[112:113], s[16:17], v[88:89]
	v_fma_f64 v[90:91], v[114:115], s[16:17], -v[90:91]
	v_fma_f64 v[92:93], v[112:113], s[18:19], v[92:93]
	v_fma_f64 v[94:95], v[114:115], s[18:19], -v[94:95]
	v_fma_f64 v[98:99], v[112:113], s[20:21], -v[96:97]
	v_fma_f64 v[96:97], v[112:113], s[20:21], v[96:97]
	v_fma_f64 v[102:103], v[114:115], s[20:21], v[100:101]
	v_fma_f64 v[100:101], v[114:115], s[20:21], -v[100:101]
	v_fma_f64 v[104:105], v[112:113], s[22:23], -v[2:3]
	v_fma_f64 v[2:3], v[112:113], s[22:23], v[2:3]
	v_fma_f64 v[106:107], v[114:115], s[22:23], v[0:1]
	v_fma_f64 v[0:1], v[114:115], s[22:23], -v[0:1]
	v_add_f64 v[203:204], v[58:59], v[34:35]
	v_add_f64 v[229:230], v[60:61], v[36:37]
	;; [unrolled: 1-line block ×3, first 2 shown]
	v_add_f64 v[152:153], v[70:71], -v[66:67]
	v_add_f64 v[209:210], v[74:75], -v[78:79]
	v_add_f64 v[4:5], v[12:13], v[4:5]
	v_add_f64 v[199:200], v[72:73], -v[76:77]
	v_add_f64 v[8:9], v[12:13], v[8:9]
	v_add_f64 v[6:7], v[14:15], v[6:7]
	;; [unrolled: 1-line block ×19, first 2 shown]
	v_mul_f64 v[166:167], v[152:153], s[28:29]
	v_mul_f64 v[162:163], v[152:153], s[42:43]
	v_add_f64 v[4:5], v[120:121], v[4:5]
	v_fma_f64 v[120:121], v[110:111], s[6:7], -v[122:123]
	v_mul_f64 v[158:159], v[152:153], s[52:53]
	v_mul_f64 v[170:171], v[152:153], s[34:35]
	;; [unrolled: 1-line block ×7, first 2 shown]
	v_add_f64 v[6:7], v[120:121], v[6:7]
	v_mul_f64 v[120:121], v[118:119], s[42:43]
	scratch_store_b64 off, v[122:123], off offset:152 ; 8-byte Folded Spill
	v_mul_f64 v[122:123], v[116:117], s[42:43]
	scratch_store_b64 off, v[120:121], off offset:208 ; 8-byte Folded Spill
	v_fma_f64 v[120:121], v[108:109], s[10:11], v[120:121]
	scratch_store_b64 off, v[122:123], off offset:216 ; 8-byte Folded Spill
	v_add_f64 v[8:9], v[120:121], v[8:9]
	v_fma_f64 v[120:121], v[110:111], s[10:11], -v[122:123]
	v_mul_f64 v[122:123], v[116:117], s[26:27]
	s_delay_alu instid0(VALU_DEP_2)
	v_add_f64 v[10:11], v[120:121], v[10:11]
	v_mul_f64 v[120:121], v[118:119], s[26:27]
	s_clause 0x1
	scratch_store_b64 off, v[122:123], off offset:200
	scratch_store_b64 off, v[120:121], off offset:192
	v_fma_f64 v[120:121], v[108:109], s[18:19], v[120:121]
	s_delay_alu instid0(VALU_DEP_1) | instskip(SKIP_2) | instid1(VALU_DEP_2)
	v_add_f64 v[80:81], v[120:121], v[80:81]
	v_fma_f64 v[120:121], v[110:111], s[18:19], -v[122:123]
	v_mul_f64 v[122:123], v[116:117], s[34:35]
	v_add_f64 v[82:83], v[120:121], v[82:83]
	v_mul_f64 v[120:121], v[118:119], s[34:35]
	s_clause 0x1
	scratch_store_b64 off, v[122:123], off offset:184
	scratch_store_b64 off, v[120:121], off offset:176
	v_fma_f64 v[120:121], v[108:109], s[22:23], v[120:121]
	s_delay_alu instid0(VALU_DEP_1) | instskip(SKIP_2) | instid1(VALU_DEP_2)
	v_add_f64 v[84:85], v[120:121], v[84:85]
	v_fma_f64 v[120:121], v[110:111], s[22:23], -v[122:123]
	v_mul_f64 v[122:123], v[116:117], s[50:51]
	v_add_f64 v[86:87], v[120:121], v[86:87]
	v_mul_f64 v[120:121], v[118:119], s[50:51]
	scratch_store_b64 off, v[120:121], off offset:160 ; 8-byte Folded Spill
	v_fma_f64 v[120:121], v[108:109], s[20:21], v[120:121]
	s_delay_alu instid0(VALU_DEP_1) | instskip(SKIP_1) | instid1(VALU_DEP_1)
	v_add_f64 v[88:89], v[120:121], v[88:89]
	v_fma_f64 v[120:121], v[110:111], s[20:21], -v[122:123]
	v_add_f64 v[90:91], v[120:121], v[90:91]
	v_mul_f64 v[120:121], v[118:119], s[48:49]
	scratch_store_b64 off, v[122:123], off offset:168 ; 8-byte Folded Spill
	v_mul_f64 v[122:123], v[116:117], s[48:49]
	scratch_store_b64 off, v[120:121], off offset:224 ; 8-byte Folded Spill
	v_fma_f64 v[120:121], v[108:109], s[16:17], v[120:121]
	scratch_store_b64 off, v[122:123], off offset:232 ; 8-byte Folded Spill
	v_add_f64 v[92:93], v[120:121], v[92:93]
	v_fma_f64 v[120:121], v[110:111], s[16:17], -v[122:123]
	s_delay_alu instid0(VALU_DEP_1) | instskip(SKIP_2) | instid1(VALU_DEP_2)
	v_add_f64 v[94:95], v[120:121], v[94:95]
	v_mul_f64 v[120:121], v[118:119], s[28:29]
	v_mul_f64 v[118:119], v[118:119], s[44:45]
	v_fma_f64 v[122:123], v[108:109], s[8:9], -v[120:121]
	v_fma_f64 v[120:121], v[108:109], s[8:9], v[120:121]
	s_delay_alu instid0(VALU_DEP_2) | instskip(SKIP_1) | instid1(VALU_DEP_3)
	v_add_f64 v[98:99], v[122:123], v[98:99]
	v_mul_f64 v[122:123], v[116:117], s[28:29]
	v_add_f64 v[96:97], v[120:121], v[96:97]
	v_mul_f64 v[116:117], v[116:117], s[44:45]
	s_delay_alu instid0(VALU_DEP_3) | instskip(SKIP_1) | instid1(VALU_DEP_2)
	v_fma_f64 v[120:121], v[110:111], s[8:9], -v[122:123]
	v_fma_f64 v[124:125], v[110:111], s[8:9], v[122:123]
	v_add_f64 v[100:101], v[120:121], v[100:101]
	v_fma_f64 v[120:121], v[108:109], s[0:1], -v[118:119]
	v_fma_f64 v[118:119], v[108:109], s[0:1], v[118:119]
	s_delay_alu instid0(VALU_DEP_4) | instskip(NEXT) | instid1(VALU_DEP_3)
	v_add_f64 v[102:103], v[124:125], v[102:103]
	v_add_f64 v[104:105], v[120:121], v[104:105]
	v_fma_f64 v[120:121], v[110:111], s[0:1], v[116:117]
	s_delay_alu instid0(VALU_DEP_4) | instskip(SKIP_2) | instid1(VALU_DEP_4)
	v_add_f64 v[2:3], v[118:119], v[2:3]
	v_fma_f64 v[116:117], v[110:111], s[0:1], -v[116:117]
	v_add_f64 v[118:119], v[50:51], -v[26:27]
	v_add_f64 v[106:107], v[120:121], v[106:107]
	s_delay_alu instid0(VALU_DEP_3) | instskip(SKIP_1) | instid1(VALU_DEP_4)
	v_add_f64 v[0:1], v[116:117], v[0:1]
	v_add_f64 v[116:117], v[48:49], -v[24:25]
	v_mul_f64 v[120:121], v[118:119], s[36:37]
	s_delay_alu instid0(VALU_DEP_2) | instskip(SKIP_2) | instid1(VALU_DEP_1)
	v_mul_f64 v[122:123], v[116:117], s[36:37]
	scratch_store_b64 off, v[120:121], off offset:240 ; 8-byte Folded Spill
	v_fma_f64 v[120:121], v[144:145], s[8:9], v[120:121]
	v_add_f64 v[4:5], v[120:121], v[4:5]
	v_fma_f64 v[120:121], v[148:149], s[8:9], -v[122:123]
	s_delay_alu instid0(VALU_DEP_1)
	v_add_f64 v[6:7], v[120:121], v[6:7]
	v_mul_f64 v[120:121], v[118:119], s[26:27]
	scratch_store_b64 off, v[122:123], off offset:248 ; 8-byte Folded Spill
	v_mul_f64 v[122:123], v[116:117], s[26:27]
	scratch_store_b64 off, v[120:121], off offset:304 ; 8-byte Folded Spill
	v_fma_f64 v[120:121], v[144:145], s[18:19], v[120:121]
	scratch_store_b64 off, v[122:123], off offset:312 ; 8-byte Folded Spill
	v_add_f64 v[8:9], v[120:121], v[8:9]
	v_fma_f64 v[120:121], v[148:149], s[18:19], -v[122:123]
	v_mul_f64 v[122:123], v[116:117], s[40:41]
	s_delay_alu instid0(VALU_DEP_2)
	v_add_f64 v[10:11], v[120:121], v[10:11]
	v_mul_f64 v[120:121], v[118:119], s[40:41]
	s_mov_b32 s41, 0x3fe58eea
	s_mov_b32 s40, s46
	scratch_store_b64 off, v[122:123], off offset:296 ; 8-byte Folded Spill
	v_mul_f64 v[179:180], v[152:153], s[40:41]
	v_mul_f64 v[193:194], v[199:200], s[40:41]
	scratch_store_b64 off, v[120:121], off offset:288 ; 8-byte Folded Spill
	v_fma_f64 v[120:121], v[144:145], s[22:23], v[120:121]
	s_delay_alu instid0(VALU_DEP_1) | instskip(SKIP_2) | instid1(VALU_DEP_2)
	v_add_f64 v[80:81], v[120:121], v[80:81]
	v_fma_f64 v[120:121], v[148:149], s[22:23], -v[122:123]
	v_mul_f64 v[122:123], v[116:117], s[48:49]
	v_add_f64 v[82:83], v[120:121], v[82:83]
	v_mul_f64 v[120:121], v[118:119], s[48:49]
	s_clause 0x1
	scratch_store_b64 off, v[122:123], off offset:280
	scratch_store_b64 off, v[120:121], off offset:272
	v_fma_f64 v[120:121], v[144:145], s[16:17], v[120:121]
	s_delay_alu instid0(VALU_DEP_1) | instskip(SKIP_2) | instid1(VALU_DEP_2)
	v_add_f64 v[84:85], v[120:121], v[84:85]
	v_fma_f64 v[120:121], v[148:149], s[16:17], -v[122:123]
	v_mul_f64 v[122:123], v[116:117], s[40:41]
	v_add_f64 v[86:87], v[120:121], v[86:87]
	v_mul_f64 v[120:121], v[118:119], s[40:41]
	scratch_store_b64 off, v[120:121], off offset:256 ; 8-byte Folded Spill
	v_fma_f64 v[120:121], v[144:145], s[6:7], v[120:121]
	s_delay_alu instid0(VALU_DEP_1) | instskip(SKIP_1) | instid1(VALU_DEP_1)
	v_add_f64 v[88:89], v[120:121], v[88:89]
	v_fma_f64 v[120:121], v[148:149], s[6:7], -v[122:123]
	v_add_f64 v[90:91], v[120:121], v[90:91]
	v_mul_f64 v[120:121], v[118:119], s[38:39]
	scratch_store_b64 off, v[122:123], off offset:264 ; 8-byte Folded Spill
	v_mul_f64 v[122:123], v[116:117], s[38:39]
	scratch_store_b64 off, v[120:121], off offset:320 ; 8-byte Folded Spill
	v_fma_f64 v[120:121], v[144:145], s[0:1], v[120:121]
	scratch_store_b64 off, v[122:123], off offset:328 ; 8-byte Folded Spill
	v_add_f64 v[92:93], v[120:121], v[92:93]
	v_fma_f64 v[120:121], v[148:149], s[0:1], -v[122:123]
	s_delay_alu instid0(VALU_DEP_1) | instskip(SKIP_2) | instid1(VALU_DEP_2)
	v_add_f64 v[94:95], v[120:121], v[94:95]
	v_mul_f64 v[120:121], v[118:119], s[42:43]
	v_mul_f64 v[118:119], v[118:119], s[30:31]
	v_fma_f64 v[122:123], v[144:145], s[10:11], -v[120:121]
	v_fma_f64 v[120:121], v[144:145], s[10:11], v[120:121]
	s_delay_alu instid0(VALU_DEP_2) | instskip(SKIP_1) | instid1(VALU_DEP_3)
	v_add_f64 v[98:99], v[122:123], v[98:99]
	v_mul_f64 v[122:123], v[116:117], s[42:43]
	v_add_f64 v[96:97], v[120:121], v[96:97]
	v_mul_f64 v[116:117], v[116:117], s[30:31]
	s_delay_alu instid0(VALU_DEP_3) | instskip(SKIP_1) | instid1(VALU_DEP_2)
	v_fma_f64 v[120:121], v[148:149], s[10:11], -v[122:123]
	v_fma_f64 v[124:125], v[148:149], s[10:11], v[122:123]
	v_add_f64 v[100:101], v[120:121], v[100:101]
	v_fma_f64 v[120:121], v[144:145], s[20:21], -v[118:119]
	v_fma_f64 v[118:119], v[144:145], s[20:21], v[118:119]
	s_delay_alu instid0(VALU_DEP_4) | instskip(NEXT) | instid1(VALU_DEP_3)
	v_add_f64 v[102:103], v[124:125], v[102:103]
	v_add_f64 v[104:105], v[120:121], v[104:105]
	v_fma_f64 v[120:121], v[148:149], s[20:21], v[116:117]
	s_delay_alu instid0(VALU_DEP_4) | instskip(SKIP_2) | instid1(VALU_DEP_4)
	v_add_f64 v[2:3], v[118:119], v[2:3]
	v_fma_f64 v[116:117], v[148:149], s[20:21], -v[116:117]
	v_add_f64 v[118:119], v[54:55], -v[30:31]
	v_add_f64 v[106:107], v[120:121], v[106:107]
	s_delay_alu instid0(VALU_DEP_3) | instskip(SKIP_1) | instid1(VALU_DEP_4)
	v_add_f64 v[0:1], v[116:117], v[0:1]
	v_add_f64 v[116:117], v[52:53], -v[28:29]
	v_mul_f64 v[120:121], v[118:119], s[42:43]
	v_mul_f64 v[217:218], v[118:119], s[34:35]
	;; [unrolled: 1-line block ×3, first 2 shown]
	s_delay_alu instid0(VALU_DEP_4) | instskip(SKIP_4) | instid1(VALU_DEP_3)
	v_mul_f64 v[122:123], v[116:117], s[42:43]
	scratch_store_b64 off, v[120:121], off offset:336 ; 8-byte Folded Spill
	v_fma_f64 v[120:121], v[172:173], s[10:11], v[120:121]
	v_mul_f64 v[219:220], v[116:117], s[34:35]
	v_mul_f64 v[227:228], v[116:117], s[30:31]
	v_add_f64 v[4:5], v[120:121], v[4:5]
	v_fma_f64 v[120:121], v[177:178], s[10:11], -v[122:123]
	s_delay_alu instid0(VALU_DEP_1) | instskip(SKIP_1) | instid1(VALU_DEP_1)
	v_add_f64 v[6:7], v[120:121], v[6:7]
	v_fma_f64 v[120:121], v[172:173], s[22:23], v[217:218]
	v_add_f64 v[8:9], v[120:121], v[8:9]
	v_fma_f64 v[120:121], v[177:178], s[22:23], -v[219:220]
	s_delay_alu instid0(VALU_DEP_1)
	v_add_f64 v[10:11], v[120:121], v[10:11]
	v_mul_f64 v[120:121], v[118:119], s[48:49]
	scratch_store_b64 off, v[122:123], off offset:344 ; 8-byte Folded Spill
	v_mul_f64 v[122:123], v[116:117], s[48:49]
	scratch_store_b64 off, v[120:121], off offset:384 ; 8-byte Folded Spill
	v_fma_f64 v[120:121], v[172:173], s[16:17], v[120:121]
	scratch_store_b64 off, v[122:123], off offset:392 ; 8-byte Folded Spill
	v_add_f64 v[80:81], v[120:121], v[80:81]
	v_fma_f64 v[120:121], v[177:178], s[16:17], -v[122:123]
	v_mul_f64 v[122:123], v[116:117], s[44:45]
	s_delay_alu instid0(VALU_DEP_2)
	v_add_f64 v[82:83], v[120:121], v[82:83]
	v_mul_f64 v[120:121], v[118:119], s[44:45]
	s_clause 0x1
	scratch_store_b64 off, v[122:123], off offset:376
	scratch_store_b64 off, v[120:121], off offset:368
	v_fma_f64 v[120:121], v[172:173], s[0:1], v[120:121]
	s_delay_alu instid0(VALU_DEP_1) | instskip(SKIP_2) | instid1(VALU_DEP_2)
	v_add_f64 v[84:85], v[120:121], v[84:85]
	v_fma_f64 v[120:121], v[177:178], s[0:1], -v[122:123]
	v_mul_f64 v[122:123], v[116:117], s[36:37]
	v_add_f64 v[86:87], v[120:121], v[86:87]
	v_mul_f64 v[120:121], v[118:119], s[36:37]
	s_clause 0x1
	scratch_store_b64 off, v[122:123], off offset:360
	scratch_store_b64 off, v[120:121], off offset:352
	v_fma_f64 v[120:121], v[172:173], s[8:9], v[120:121]
	s_waitcnt lgkmcnt(0)
	s_waitcnt_vscnt null, 0x0
	s_barrier
	buffer_gl0_inv
	scratch_load_b32 v176, off, off         ; 4-byte Folded Reload
	v_add_f64 v[88:89], v[120:121], v[88:89]
	v_fma_f64 v[120:121], v[177:178], s[8:9], -v[122:123]
	s_delay_alu instid0(VALU_DEP_1) | instskip(SKIP_1) | instid1(VALU_DEP_1)
	v_add_f64 v[90:91], v[120:121], v[90:91]
	v_fma_f64 v[120:121], v[172:173], s[20:21], v[221:222]
	v_add_f64 v[92:93], v[120:121], v[92:93]
	v_fma_f64 v[120:121], v[177:178], s[20:21], -v[227:228]
	s_delay_alu instid0(VALU_DEP_1) | instskip(SKIP_2) | instid1(VALU_DEP_2)
	v_add_f64 v[94:95], v[120:121], v[94:95]
	v_mul_f64 v[120:121], v[118:119], s[52:53]
	v_mul_f64 v[118:119], v[118:119], s[40:41]
	v_fma_f64 v[122:123], v[172:173], s[18:19], -v[120:121]
	v_fma_f64 v[120:121], v[172:173], s[18:19], v[120:121]
	s_delay_alu instid0(VALU_DEP_2) | instskip(SKIP_1) | instid1(VALU_DEP_3)
	v_add_f64 v[98:99], v[122:123], v[98:99]
	v_mul_f64 v[122:123], v[116:117], s[52:53]
	v_add_f64 v[96:97], v[120:121], v[96:97]
	v_mul_f64 v[116:117], v[116:117], s[40:41]
	s_delay_alu instid0(VALU_DEP_3) | instskip(SKIP_1) | instid1(VALU_DEP_2)
	v_fma_f64 v[120:121], v[177:178], s[18:19], -v[122:123]
	v_fma_f64 v[124:125], v[177:178], s[18:19], v[122:123]
	v_add_f64 v[100:101], v[120:121], v[100:101]
	v_fma_f64 v[120:121], v[172:173], s[6:7], -v[118:119]
	v_fma_f64 v[118:119], v[172:173], s[6:7], v[118:119]
	s_delay_alu instid0(VALU_DEP_4)
	v_add_f64 v[102:103], v[124:125], v[102:103]
	s_waitcnt vmcnt(0)
	v_mul_lo_u16 v176, v176, 17
	scratch_store_b32 off, v176, off offset:12 ; 4-byte Folded Spill
	v_add_f64 v[104:105], v[120:121], v[104:105]
	v_fma_f64 v[120:121], v[177:178], s[6:7], v[116:117]
	v_add_f64 v[2:3], v[118:119], v[2:3]
	v_fma_f64 v[116:117], v[177:178], s[6:7], -v[116:117]
	v_add_f64 v[118:119], v[58:59], -v[34:35]
	s_delay_alu instid0(VALU_DEP_4) | instskip(NEXT) | instid1(VALU_DEP_3)
	v_add_f64 v[106:107], v[120:121], v[106:107]
	v_add_f64 v[0:1], v[116:117], v[0:1]
	v_add_f64 v[116:117], v[56:57], -v[32:33]
	s_delay_alu instid0(VALU_DEP_4)
	v_mul_f64 v[223:224], v[118:119], s[24:25]
	v_mul_f64 v[245:246], v[118:119], s[50:51]
	;; [unrolled: 1-line block ×6, first 2 shown]
	v_fma_f64 v[120:121], v[201:202], s[16:17], v[223:224]
	v_mul_f64 v[247:248], v[116:117], s[50:51]
	v_mul_f64 v[243:244], v[116:117], s[40:41]
	;; [unrolled: 1-line block ×4, first 2 shown]
	s_mov_b32 s37, 0x3fefdd0d
	s_mov_b32 s36, s42
	s_delay_alu instid0(SALU_CYCLE_1) | instskip(SKIP_3) | instid1(VALU_DEP_1)
	v_mul_f64 v[249:250], v[118:119], s[36:37]
	v_mul_f64 v[251:252], v[116:117], s[36:37]
	v_add_f64 v[4:5], v[120:121], v[4:5]
	v_fma_f64 v[120:121], v[203:204], s[16:17], -v[225:226]
	v_add_f64 v[6:7], v[120:121], v[6:7]
	v_fma_f64 v[120:121], v[201:202], s[20:21], v[245:246]
	s_delay_alu instid0(VALU_DEP_1) | instskip(SKIP_1) | instid1(VALU_DEP_1)
	v_add_f64 v[8:9], v[120:121], v[8:9]
	v_fma_f64 v[120:121], v[203:204], s[20:21], -v[247:248]
	v_add_f64 v[10:11], v[120:121], v[10:11]
	v_fma_f64 v[120:121], v[201:202], s[6:7], v[241:242]
	s_delay_alu instid0(VALU_DEP_1) | instskip(SKIP_1) | instid1(VALU_DEP_1)
	;; [unrolled: 5-line block ×5, first 2 shown]
	v_add_f64 v[92:93], v[120:121], v[92:93]
	v_fma_f64 v[120:121], v[203:204], s[10:11], -v[251:252]
	v_add_f64 v[94:95], v[120:121], v[94:95]
	v_mul_f64 v[120:121], v[118:119], s[38:39]
	v_mul_f64 v[118:119], v[118:119], s[26:27]
	s_delay_alu instid0(VALU_DEP_2) | instskip(SKIP_1) | instid1(VALU_DEP_2)
	v_fma_f64 v[122:123], v[201:202], s[0:1], -v[120:121]
	v_fma_f64 v[120:121], v[201:202], s[0:1], v[120:121]
	v_add_f64 v[98:99], v[122:123], v[98:99]
	v_mul_f64 v[122:123], v[116:117], s[38:39]
	s_delay_alu instid0(VALU_DEP_3) | instskip(SKIP_1) | instid1(VALU_DEP_3)
	v_add_f64 v[96:97], v[120:121], v[96:97]
	v_mul_f64 v[116:117], v[116:117], s[26:27]
	v_fma_f64 v[120:121], v[203:204], s[0:1], -v[122:123]
	v_fma_f64 v[124:125], v[203:204], s[0:1], v[122:123]
	s_delay_alu instid0(VALU_DEP_2) | instskip(SKIP_2) | instid1(VALU_DEP_4)
	v_add_f64 v[100:101], v[120:121], v[100:101]
	v_fma_f64 v[120:121], v[201:202], s[18:19], -v[118:119]
	v_fma_f64 v[118:119], v[201:202], s[18:19], v[118:119]
	v_add_f64 v[102:103], v[124:125], v[102:103]
	s_delay_alu instid0(VALU_DEP_3) | instskip(SKIP_1) | instid1(VALU_DEP_4)
	v_add_f64 v[104:105], v[120:121], v[104:105]
	v_fma_f64 v[120:121], v[203:204], s[18:19], v[116:117]
	v_add_f64 v[2:3], v[118:119], v[2:3]
	v_fma_f64 v[116:117], v[203:204], s[18:19], -v[116:117]
	v_add_f64 v[118:119], v[60:61], -v[36:37]
	s_delay_alu instid0(VALU_DEP_4) | instskip(SKIP_1) | instid1(VALU_DEP_4)
	v_add_f64 v[106:107], v[120:121], v[106:107]
	v_add_f64 v[120:121], v[62:63], -v[38:39]
	v_add_f64 v[0:1], v[116:117], v[0:1]
	s_delay_alu instid0(VALU_DEP_4)
	v_mul_f64 v[116:117], v[118:119], s[26:27]
	v_mul_f64 v[136:137], v[118:119], s[48:49]
	;; [unrolled: 1-line block ×11, first 2 shown]
	v_fma_f64 v[122:123], v[229:230], s[18:19], v[253:254]
	s_delay_alu instid0(VALU_DEP_1) | instskip(SKIP_1) | instid1(VALU_DEP_1)
	v_add_f64 v[4:5], v[122:123], v[4:5]
	v_fma_f64 v[122:123], v[231:232], s[18:19], -v[116:117]
	v_add_f64 v[6:7], v[122:123], v[6:7]
	v_fma_f64 v[122:123], v[229:230], s[16:17], v[134:135]
	s_delay_alu instid0(VALU_DEP_1) | instskip(SKIP_1) | instid1(VALU_DEP_1)
	v_add_f64 v[8:9], v[122:123], v[8:9]
	v_fma_f64 v[122:123], v[231:232], s[16:17], -v[136:137]
	v_add_f64 v[10:11], v[122:123], v[10:11]
	;; [unrolled: 5-line block ×4, first 2 shown]
	v_mul_f64 v[122:123], v[120:121], s[36:37]
	s_delay_alu instid0(VALU_DEP_1) | instskip(NEXT) | instid1(VALU_DEP_1)
	v_fma_f64 v[138:139], v[229:230], s[10:11], v[122:123]
	v_add_f64 v[88:89], v[138:139], v[88:89]
	v_fma_f64 v[138:139], v[231:232], s[10:11], -v[124:125]
	s_delay_alu instid0(VALU_DEP_1) | instskip(SKIP_1) | instid1(VALU_DEP_1)
	v_add_f64 v[90:91], v[138:139], v[90:91]
	v_fma_f64 v[138:139], v[229:230], s[6:7], v[140:141]
	v_add_f64 v[92:93], v[138:139], v[92:93]
	v_fma_f64 v[138:139], v[231:232], s[6:7], -v[146:147]
	s_delay_alu instid0(VALU_DEP_1) | instskip(SKIP_2) | instid1(VALU_DEP_2)
	v_add_f64 v[94:95], v[138:139], v[94:95]
	v_mul_f64 v[138:139], v[120:121], s[34:35]
	v_mul_f64 v[120:121], v[120:121], s[28:29]
	v_fma_f64 v[142:143], v[229:230], s[22:23], -v[138:139]
	v_fma_f64 v[138:139], v[229:230], s[22:23], v[138:139]
	s_delay_alu instid0(VALU_DEP_2) | instskip(SKIP_1) | instid1(VALU_DEP_3)
	v_add_f64 v[98:99], v[142:143], v[98:99]
	v_mul_f64 v[142:143], v[118:119], s[34:35]
	v_add_f64 v[96:97], v[138:139], v[96:97]
	v_mul_f64 v[118:119], v[118:119], s[28:29]
	s_delay_alu instid0(VALU_DEP_3) | instskip(SKIP_1) | instid1(VALU_DEP_2)
	v_fma_f64 v[138:139], v[231:232], s[22:23], -v[142:143]
	v_fma_f64 v[150:151], v[231:232], s[22:23], v[142:143]
	v_add_f64 v[100:101], v[138:139], v[100:101]
	v_fma_f64 v[138:139], v[229:230], s[8:9], -v[120:121]
	s_delay_alu instid0(VALU_DEP_3) | instskip(SKIP_2) | instid1(VALU_DEP_4)
	v_add_f64 v[102:103], v[150:151], v[102:103]
	v_fma_f64 v[120:121], v[229:230], s[8:9], v[120:121]
	v_add_f64 v[150:151], v[68:69], -v[64:65]
	v_add_f64 v[104:105], v[138:139], v[104:105]
	v_fma_f64 v[138:139], v[231:232], s[8:9], v[118:119]
	v_fma_f64 v[118:119], v[231:232], s[8:9], -v[118:119]
	v_add_f64 v[2:3], v[120:121], v[2:3]
	v_add_f64 v[120:121], v[70:71], v[66:67]
	v_mul_f64 v[142:143], v[150:151], s[30:31]
	v_mul_f64 v[168:169], v[150:151], s[28:29]
	;; [unrolled: 1-line block ×6, first 2 shown]
	v_add_f64 v[106:107], v[138:139], v[106:107]
	v_add_f64 v[0:1], v[118:119], v[0:1]
	;; [unrolled: 1-line block ×3, first 2 shown]
	v_mul_f64 v[138:139], v[152:153], s[30:31]
	s_delay_alu instid0(VALU_DEP_1) | instskip(NEXT) | instid1(VALU_DEP_1)
	v_fma_f64 v[154:155], v[118:119], s[20:21], v[138:139]
	v_add_f64 v[4:5], v[154:155], v[4:5]
	v_fma_f64 v[154:155], v[120:121], s[20:21], -v[142:143]
	s_delay_alu instid0(VALU_DEP_1) | instskip(SKIP_1) | instid1(VALU_DEP_1)
	v_add_f64 v[6:7], v[154:155], v[6:7]
	v_fma_f64 v[154:155], v[118:119], s[8:9], v[166:167]
	v_add_f64 v[187:188], v[154:155], v[8:9]
	v_fma_f64 v[8:9], v[120:121], s[8:9], -v[168:169]
	v_mul_f64 v[154:155], v[152:153], s[38:39]
	v_mul_f64 v[152:153], v[152:153], s[24:25]
	s_delay_alu instid0(VALU_DEP_3) | instskip(SKIP_2) | instid1(VALU_DEP_2)
	v_add_f64 v[189:190], v[8:9], v[10:11]
	v_fma_f64 v[8:9], v[118:119], s[10:11], v[162:163]
	v_fma_f64 v[10:11], v[120:121], s[10:11], -v[164:165]
	v_add_f64 v[8:9], v[8:9], v[80:81]
	v_fma_f64 v[80:81], v[118:119], s[18:19], v[158:159]
	s_delay_alu instid0(VALU_DEP_3) | instskip(SKIP_1) | instid1(VALU_DEP_3)
	v_add_f64 v[10:11], v[10:11], v[82:83]
	v_fma_f64 v[82:83], v[120:121], s[18:19], -v[160:161]
	v_add_f64 v[80:81], v[80:81], v[84:85]
	v_fma_f64 v[84:85], v[118:119], s[0:1], v[154:155]
	s_delay_alu instid0(VALU_DEP_3) | instskip(NEXT) | instid1(VALU_DEP_2)
	v_add_f64 v[82:83], v[82:83], v[86:87]
	v_add_f64 v[88:89], v[84:85], v[88:89]
	v_fma_f64 v[84:85], v[120:121], s[0:1], -v[156:157]
	s_delay_alu instid0(VALU_DEP_1) | instskip(SKIP_1) | instid1(VALU_DEP_1)
	v_add_f64 v[90:91], v[84:85], v[90:91]
	v_fma_f64 v[84:85], v[118:119], s[22:23], v[170:171]
	v_add_f64 v[92:93], v[84:85], v[92:93]
	v_fma_f64 v[84:85], v[120:121], s[22:23], -v[174:175]
	s_delay_alu instid0(VALU_DEP_1) | instskip(SKIP_1) | instid1(VALU_DEP_1)
	v_add_f64 v[94:95], v[84:85], v[94:95]
	v_fma_f64 v[84:85], v[118:119], s[6:7], -v[179:180]
	v_add_f64 v[84:85], v[84:85], v[98:99]
	v_mul_f64 v[98:99], v[150:151], s[40:41]
	v_mul_f64 v[150:151], v[150:151], s[24:25]
	s_delay_alu instid0(VALU_DEP_2) | instskip(SKIP_1) | instid1(VALU_DEP_2)
	v_fma_f64 v[86:87], v[120:121], s[6:7], v[98:99]
	v_fma_f64 v[98:99], v[120:121], s[6:7], -v[98:99]
	v_add_f64 v[86:87], v[86:87], v[102:103]
	s_delay_alu instid0(VALU_DEP_2) | instskip(SKIP_3) | instid1(VALU_DEP_3)
	v_add_f64 v[98:99], v[98:99], v[100:101]
	v_fma_f64 v[100:101], v[118:119], s[16:17], -v[152:153]
	v_fma_f64 v[102:103], v[118:119], s[6:7], v[179:180]
	v_mul_f64 v[179:180], v[209:210], s[34:35]
	v_add_f64 v[100:101], v[100:101], v[104:105]
	v_fma_f64 v[104:105], v[118:119], s[16:17], v[152:153]
	s_delay_alu instid0(VALU_DEP_4) | instskip(SKIP_2) | instid1(VALU_DEP_4)
	v_add_f64 v[96:97], v[102:103], v[96:97]
	v_fma_f64 v[102:103], v[120:121], s[16:17], v[150:151]
	v_add_f64 v[152:153], v[74:75], v[78:79]
	v_add_f64 v[104:105], v[104:105], v[2:3]
	v_fma_f64 v[2:3], v[120:121], s[16:17], -v[150:151]
	v_add_f64 v[150:151], v[72:73], v[76:77]
	v_add_f64 v[102:103], v[102:103], v[106:107]
	s_delay_alu instid0(VALU_DEP_3) | instskip(NEXT) | instid1(VALU_DEP_3)
	v_add_f64 v[106:107], v[2:3], v[0:1]
	v_fma_f64 v[0:1], v[150:151], s[22:23], v[179:180]
	v_fma_f64 v[2:3], v[152:153], s[22:23], -v[181:182]
	s_delay_alu instid0(VALU_DEP_2) | instskip(SKIP_1) | instid1(VALU_DEP_3)
	v_add_f64 v[0:1], v[0:1], v[4:5]
	v_fma_f64 v[4:5], v[150:151], s[0:1], v[183:184]
	v_add_f64 v[2:3], v[2:3], v[6:7]
	v_fma_f64 v[6:7], v[152:153], s[0:1], -v[185:186]
	s_delay_alu instid0(VALU_DEP_3) | instskip(SKIP_1) | instid1(VALU_DEP_3)
	v_add_f64 v[4:5], v[4:5], v[187:188]
	v_mul_f64 v[187:188], v[209:210], s[30:31]
	v_add_f64 v[6:7], v[6:7], v[189:190]
	v_mul_f64 v[189:190], v[199:200], s[30:31]
	s_delay_alu instid0(VALU_DEP_3) | instskip(NEXT) | instid1(VALU_DEP_1)
	v_fma_f64 v[191:192], v[150:151], s[20:21], v[187:188]
	v_add_f64 v[8:9], v[191:192], v[8:9]
	s_delay_alu instid0(VALU_DEP_3) | instskip(NEXT) | instid1(VALU_DEP_1)
	v_fma_f64 v[191:192], v[152:153], s[20:21], -v[189:190]
	v_add_f64 v[10:11], v[191:192], v[10:11]
	v_mul_f64 v[191:192], v[209:210], s[40:41]
	s_delay_alu instid0(VALU_DEP_1) | instskip(NEXT) | instid1(VALU_DEP_1)
	v_fma_f64 v[195:196], v[150:151], s[6:7], v[191:192]
	v_add_f64 v[80:81], v[195:196], v[80:81]
	v_fma_f64 v[195:196], v[152:153], s[6:7], -v[193:194]
	s_delay_alu instid0(VALU_DEP_1) | instskip(SKIP_1) | instid1(VALU_DEP_1)
	v_add_f64 v[82:83], v[195:196], v[82:83]
	v_mul_f64 v[195:196], v[209:210], s[26:27]
	v_fma_f64 v[205:206], v[150:151], s[18:19], v[195:196]
	s_delay_alu instid0(VALU_DEP_1) | instskip(SKIP_1) | instid1(VALU_DEP_1)
	v_add_f64 v[88:89], v[205:206], v[88:89]
	v_fma_f64 v[205:206], v[152:153], s[18:19], -v[197:198]
	v_add_f64 v[90:91], v[205:206], v[90:91]
	v_mul_f64 v[205:206], v[209:210], s[28:29]
	s_delay_alu instid0(VALU_DEP_1) | instskip(NEXT) | instid1(VALU_DEP_1)
	v_fma_f64 v[211:212], v[150:151], s[8:9], v[205:206]
	v_add_f64 v[92:93], v[211:212], v[92:93]
	v_fma_f64 v[211:212], v[152:153], s[8:9], -v[207:208]
	s_delay_alu instid0(VALU_DEP_1) | instskip(SKIP_2) | instid1(VALU_DEP_2)
	v_add_f64 v[94:95], v[211:212], v[94:95]
	v_mul_f64 v[211:212], v[209:210], s[24:25]
	v_mul_f64 v[209:210], v[209:210], s[36:37]
	v_fma_f64 v[213:214], v[150:151], s[16:17], -v[211:212]
	v_fma_f64 v[211:212], v[150:151], s[16:17], v[211:212]
	s_delay_alu instid0(VALU_DEP_2) | instskip(SKIP_1) | instid1(VALU_DEP_3)
	v_add_f64 v[84:85], v[213:214], v[84:85]
	v_mul_f64 v[213:214], v[199:200], s[24:25]
	v_add_f64 v[96:97], v[211:212], v[96:97]
	v_mul_f64 v[199:200], v[199:200], s[36:37]
	s_delay_alu instid0(VALU_DEP_3) | instskip(SKIP_1) | instid1(VALU_DEP_2)
	v_fma_f64 v[211:212], v[152:153], s[16:17], -v[213:214]
	v_fma_f64 v[215:216], v[152:153], s[16:17], v[213:214]
	v_add_f64 v[98:99], v[211:212], v[98:99]
	v_fma_f64 v[211:212], v[150:151], s[10:11], -v[209:210]
	v_fma_f64 v[209:210], v[150:151], s[10:11], v[209:210]
	s_delay_alu instid0(VALU_DEP_4) | instskip(NEXT) | instid1(VALU_DEP_3)
	v_add_f64 v[86:87], v[215:216], v[86:87]
	v_add_f64 v[100:101], v[211:212], v[100:101]
	v_fma_f64 v[211:212], v[152:153], s[10:11], v[199:200]
	v_fma_f64 v[199:200], v[152:153], s[10:11], -v[199:200]
	v_add_f64 v[104:105], v[209:210], v[104:105]
	s_delay_alu instid0(VALU_DEP_3) | instskip(NEXT) | instid1(VALU_DEP_3)
	v_add_f64 v[102:103], v[211:212], v[102:103]
	v_add_f64 v[106:107], v[199:200], v[106:107]
	s_and_saveexec_b32 s24, vcc_lo
	s_cbranch_execz .LBB0_7
; %bb.6:
	v_add_f64 v[42:43], v[14:15], v[42:43]
	v_add_f64 v[40:41], v[12:13], v[40:41]
	s_delay_alu instid0(VALU_DEP_2) | instskip(NEXT) | instid1(VALU_DEP_2)
	v_add_f64 v[42:43], v[42:43], v[46:47]
	v_add_f64 v[40:41], v[40:41], v[44:45]
	scratch_load_b64 v[44:45], off, off offset:16 ; 8-byte Folded Reload
	v_add_f64 v[42:43], v[42:43], v[50:51]
	v_add_f64 v[40:41], v[40:41], v[48:49]
	v_mul_f64 v[48:49], v[144:145], s[0:1]
	scratch_load_b64 v[50:51], off, off offset:320 ; 8-byte Folded Reload
	v_add_f64 v[42:43], v[42:43], v[54:55]
	v_add_f64 v[40:41], v[40:41], v[52:53]
	scratch_load_b64 v[52:53], off, off offset:224 ; 8-byte Folded Reload
	v_mul_f64 v[54:55], v[201:202], s[10:11]
	v_add_f64 v[42:43], v[42:43], v[58:59]
	v_add_f64 v[40:41], v[40:41], v[56:57]
	v_mul_f64 v[56:57], v[231:232], s[6:7]
	s_delay_alu instid0(VALU_DEP_4) | instskip(NEXT) | instid1(VALU_DEP_4)
	v_add_f64 v[54:55], v[54:55], -v[249:250]
	v_add_f64 v[42:43], v[42:43], v[62:63]
	s_delay_alu instid0(VALU_DEP_4) | instskip(NEXT) | instid1(VALU_DEP_4)
	v_add_f64 v[40:41], v[40:41], v[60:61]
	v_add_f64 v[56:57], v[146:147], v[56:57]
	s_delay_alu instid0(VALU_DEP_3) | instskip(NEXT) | instid1(VALU_DEP_3)
	v_add_f64 v[42:43], v[42:43], v[70:71]
	v_add_f64 v[40:41], v[40:41], v[68:69]
	s_delay_alu instid0(VALU_DEP_2) | instskip(NEXT) | instid1(VALU_DEP_2)
	v_add_f64 v[42:43], v[42:43], v[74:75]
	v_add_f64 v[40:41], v[40:41], v[72:73]
	s_delay_alu instid0(VALU_DEP_2) | instskip(NEXT) | instid1(VALU_DEP_2)
	;; [unrolled: 3-line block ×4, first 2 shown]
	v_add_f64 v[38:39], v[42:43], v[38:39]
	v_add_f64 v[36:37], v[40:41], v[36:37]
	s_clause 0x1
	scratch_load_b64 v[40:41], off, off offset:32
	scratch_load_b64 v[42:43], off, off offset:24
	s_waitcnt vmcnt(3)
	v_add_f64 v[48:49], v[48:49], -v[50:51]
	v_mul_f64 v[50:51], v[108:109], s[16:17]
	v_add_f64 v[34:35], v[38:39], v[34:35]
	v_add_f64 v[32:33], v[36:37], v[32:33]
	s_clause 0x1
	scratch_load_b64 v[36:37], off, off offset:64
	scratch_load_b64 v[38:39], off, off offset:48
	s_waitcnt vmcnt(4)
	v_add_f64 v[50:51], v[50:51], -v[52:53]
	v_mul_f64 v[52:53], v[203:204], s[10:11]
	v_add_f64 v[30:31], v[34:35], v[30:31]
	v_add_f64 v[28:29], v[32:33], v[28:29]
	s_clause 0x1
	scratch_load_b64 v[32:33], off, off offset:96
	scratch_load_b64 v[34:35], off, off offset:80
	v_add_f64 v[52:53], v[251:252], v[52:53]
	v_add_f64 v[26:27], v[30:31], v[26:27]
	;; [unrolled: 1-line block ×3, first 2 shown]
	s_clause 0x1
	scratch_load_b64 v[28:29], off, off offset:112
	scratch_load_b64 v[30:31], off, off offset:104
	v_add_f64 v[22:23], v[26:27], v[22:23]
	v_add_f64 v[20:21], v[24:25], v[20:21]
	s_clause 0x1
	scratch_load_b64 v[24:25], off, off offset:128
	scratch_load_b64 v[26:27], off, off offset:120
	v_add_f64 v[18:19], v[22:23], v[18:19]
	scratch_load_b64 v[22:23], off, off offset:136 ; 8-byte Folded Reload
	v_add_f64 v[16:17], v[20:21], v[16:17]
	v_mul_f64 v[20:21], v[114:115], s[18:19]
	s_waitcnt vmcnt(0)
	s_delay_alu instid0(VALU_DEP_1) | instskip(SKIP_1) | instid1(VALU_DEP_2)
	v_add_f64 v[20:21], v[22:23], v[20:21]
	v_mul_f64 v[22:23], v[112:113], s[18:19]
	v_add_f64 v[20:21], v[14:15], v[20:21]
	s_delay_alu instid0(VALU_DEP_2) | instskip(SKIP_1) | instid1(VALU_DEP_2)
	v_add_f64 v[22:23], v[22:23], -v[24:25]
	v_mul_f64 v[24:25], v[114:115], s[16:17]
	v_add_f64 v[22:23], v[12:13], v[22:23]
	s_delay_alu instid0(VALU_DEP_2) | instskip(SKIP_1) | instid1(VALU_DEP_3)
	v_add_f64 v[24:25], v[26:27], v[24:25]
	v_mul_f64 v[26:27], v[112:113], s[16:17]
	v_add_f64 v[22:23], v[50:51], v[22:23]
	scratch_load_b64 v[50:51], off, off offset:304 ; 8-byte Folded Reload
	v_add_f64 v[26:27], v[26:27], -v[28:29]
	v_mul_f64 v[28:29], v[114:115], s[10:11]
	s_delay_alu instid0(VALU_DEP_2) | instskip(NEXT) | instid1(VALU_DEP_2)
	v_add_f64 v[46:47], v[12:13], v[26:27]
	v_add_f64 v[28:29], v[30:31], v[28:29]
	v_mul_f64 v[30:31], v[112:113], s[10:11]
	s_delay_alu instid0(VALU_DEP_2) | instskip(NEXT) | instid1(VALU_DEP_2)
	v_add_f64 v[28:29], v[14:15], v[28:29]
	v_add_f64 v[30:31], v[30:31], -v[32:33]
	v_mul_f64 v[32:33], v[114:115], s[8:9]
	s_delay_alu instid0(VALU_DEP_2) | instskip(NEXT) | instid1(VALU_DEP_2)
	v_add_f64 v[30:31], v[12:13], v[30:31]
	v_add_f64 v[32:33], v[34:35], v[32:33]
	v_mul_f64 v[34:35], v[112:113], s[8:9]
	s_delay_alu instid0(VALU_DEP_1) | instskip(SKIP_1) | instid1(VALU_DEP_2)
	v_add_f64 v[34:35], v[34:35], -v[36:37]
	v_mul_f64 v[36:37], v[114:115], s[6:7]
	v_add_f64 v[26:27], v[12:13], v[34:35]
	s_delay_alu instid0(VALU_DEP_2) | instskip(SKIP_1) | instid1(VALU_DEP_1)
	v_add_f64 v[36:37], v[38:39], v[36:37]
	v_mul_f64 v[38:39], v[112:113], s[6:7]
	v_add_f64 v[38:39], v[38:39], -v[40:41]
	v_mul_f64 v[40:41], v[114:115], s[0:1]
	s_delay_alu instid0(VALU_DEP_2) | instskip(NEXT) | instid1(VALU_DEP_2)
	v_add_f64 v[34:35], v[12:13], v[38:39]
	v_add_f64 v[40:41], v[42:43], v[40:41]
	v_mul_f64 v[42:43], v[112:113], s[0:1]
	s_delay_alu instid0(VALU_DEP_1)
	v_add_f64 v[42:43], v[42:43], -v[44:45]
	v_add_f64 v[44:45], v[14:15], v[24:25]
	v_add_f64 v[24:25], v[14:15], v[32:33]
	v_add_f64 v[32:33], v[14:15], v[36:37]
	v_add_f64 v[36:37], v[14:15], v[40:41]
	scratch_load_b64 v[40:41], off, off offset:328 ; 8-byte Folded Reload
	v_mul_f64 v[14:15], v[148:149], s[0:1]
	v_add_f64 v[38:39], v[12:13], v[42:43]
	scratch_load_b64 v[42:43], off, off offset:232 ; 8-byte Folded Reload
	v_mul_f64 v[12:13], v[177:178], s[20:21]
	s_delay_alu instid0(VALU_DEP_1) | instskip(SKIP_4) | instid1(VALU_DEP_1)
	v_add_f64 v[12:13], v[227:228], v[12:13]
	s_waitcnt vmcnt(1)
	v_add_f64 v[14:15], v[40:41], v[14:15]
	v_mul_f64 v[40:41], v[110:111], s[16:17]
	s_waitcnt vmcnt(0)
	v_add_f64 v[40:41], v[42:43], v[40:41]
	v_mul_f64 v[42:43], v[172:173], s[20:21]
	s_delay_alu instid0(VALU_DEP_2) | instskip(NEXT) | instid1(VALU_DEP_2)
	v_add_f64 v[20:21], v[40:41], v[20:21]
	v_add_f64 v[42:43], v[42:43], -v[221:222]
	v_mul_f64 v[40:41], v[229:230], s[6:7]
	s_delay_alu instid0(VALU_DEP_3) | instskip(SKIP_1) | instid1(VALU_DEP_3)
	v_add_f64 v[14:15], v[14:15], v[20:21]
	v_add_f64 v[20:21], v[48:49], v[22:23]
	v_add_f64 v[40:41], v[40:41], -v[140:141]
	v_mul_f64 v[22:23], v[120:121], s[22:23]
	v_mul_f64 v[48:49], v[144:145], s[18:19]
	v_add_f64 v[12:13], v[12:13], v[14:15]
	v_add_f64 v[14:15], v[42:43], v[20:21]
	v_mul_f64 v[20:21], v[118:119], s[22:23]
	v_add_f64 v[22:23], v[174:175], v[22:23]
	v_mul_f64 v[42:43], v[152:153], s[8:9]
	v_add_f64 v[48:49], v[48:49], -v[50:51]
	v_mul_f64 v[50:51], v[108:109], s[10:11]
	v_add_f64 v[12:13], v[52:53], v[12:13]
	v_add_f64 v[14:15], v[54:55], v[14:15]
	v_add_f64 v[20:21], v[20:21], -v[170:171]
	scratch_load_b64 v[52:53], off, off offset:208 ; 8-byte Folded Reload
	v_add_f64 v[42:43], v[207:208], v[42:43]
	v_mul_f64 v[54:55], v[201:202], s[20:21]
	v_add_f64 v[12:13], v[56:57], v[12:13]
	v_add_f64 v[14:15], v[40:41], v[14:15]
	v_mul_f64 v[40:41], v[150:151], s[8:9]
	v_mul_f64 v[56:57], v[231:232], s[16:17]
	v_add_f64 v[54:55], v[54:55], -v[245:246]
	v_add_f64 v[12:13], v[22:23], v[12:13]
	v_add_f64 v[20:21], v[20:21], v[14:15]
	v_add_f64 v[40:41], v[40:41], -v[205:206]
	v_mul_f64 v[22:23], v[148:149], s[18:19]
	v_add_f64 v[56:57], v[136:137], v[56:57]
	v_add_f64 v[14:15], v[42:43], v[12:13]
	scratch_load_b64 v[42:43], off, off offset:216 ; 8-byte Folded Reload
	v_add_f64 v[12:13], v[40:41], v[20:21]
	scratch_load_b64 v[40:41], off, off offset:312 ; 8-byte Folded Reload
	v_mul_f64 v[20:21], v[177:178], s[22:23]
	s_delay_alu instid0(VALU_DEP_1) | instskip(SKIP_3) | instid1(VALU_DEP_2)
	v_add_f64 v[20:21], v[219:220], v[20:21]
	s_waitcnt vmcnt(2)
	v_add_f64 v[50:51], v[50:51], -v[52:53]
	v_mul_f64 v[52:53], v[203:204], s[20:21]
	v_add_f64 v[34:35], v[50:51], v[34:35]
	s_delay_alu instid0(VALU_DEP_2) | instskip(SKIP_4) | instid1(VALU_DEP_1)
	v_add_f64 v[52:53], v[247:248], v[52:53]
	scratch_load_b64 v[50:51], off, off offset:288 ; 8-byte Folded Reload
	s_waitcnt vmcnt(1)
	v_add_f64 v[22:23], v[40:41], v[22:23]
	v_mul_f64 v[40:41], v[110:111], s[10:11]
	v_add_f64 v[40:41], v[42:43], v[40:41]
	v_mul_f64 v[42:43], v[172:173], s[22:23]
	s_delay_alu instid0(VALU_DEP_2) | instskip(NEXT) | instid1(VALU_DEP_2)
	v_add_f64 v[32:33], v[40:41], v[32:33]
	v_add_f64 v[42:43], v[42:43], -v[217:218]
	v_mul_f64 v[40:41], v[229:230], s[16:17]
	s_delay_alu instid0(VALU_DEP_3) | instskip(SKIP_1) | instid1(VALU_DEP_3)
	v_add_f64 v[22:23], v[22:23], v[32:33]
	v_add_f64 v[32:33], v[48:49], v[34:35]
	v_add_f64 v[40:41], v[40:41], -v[134:135]
	v_mul_f64 v[34:35], v[120:121], s[8:9]
	scratch_load_b64 v[48:49], off, off offset:384 ; 8-byte Folded Reload
	v_add_f64 v[20:21], v[20:21], v[22:23]
	v_add_f64 v[22:23], v[42:43], v[32:33]
	v_mul_f64 v[32:33], v[118:119], s[8:9]
	v_add_f64 v[34:35], v[168:169], v[34:35]
	v_mul_f64 v[42:43], v[152:153], s[0:1]
	v_add_f64 v[20:21], v[52:53], v[20:21]
	v_add_f64 v[22:23], v[54:55], v[22:23]
	v_add_f64 v[32:33], v[32:33], -v[166:167]
	scratch_load_b64 v[52:53], off, off offset:192 ; 8-byte Folded Reload
	v_add_f64 v[42:43], v[185:186], v[42:43]
	v_mul_f64 v[54:55], v[201:202], s[6:7]
	v_add_f64 v[20:21], v[56:57], v[20:21]
	v_add_f64 v[22:23], v[40:41], v[22:23]
	v_mul_f64 v[40:41], v[150:151], s[0:1]
	v_mul_f64 v[56:57], v[231:232], s[0:1]
	v_add_f64 v[54:55], v[54:55], -v[241:242]
	v_add_f64 v[20:21], v[34:35], v[20:21]
	v_add_f64 v[32:33], v[32:33], v[22:23]
	v_add_f64 v[40:41], v[40:41], -v[183:184]
	scratch_load_b64 v[34:35], off, off offset:392 ; 8-byte Folded Reload
	v_add_f64 v[56:57], v[132:133], v[56:57]
	v_add_f64 v[22:23], v[42:43], v[20:21]
	scratch_load_b64 v[42:43], off, off offset:200 ; 8-byte Folded Reload
	v_add_f64 v[20:21], v[40:41], v[32:33]
	scratch_load_b64 v[40:41], off, off offset:296 ; 8-byte Folded Reload
	v_mul_f64 v[32:33], v[177:178], s[16:17]
	s_waitcnt vmcnt(2)
	s_delay_alu instid0(VALU_DEP_1) | instskip(SKIP_2) | instid1(VALU_DEP_1)
	v_add_f64 v[32:33], v[34:35], v[32:33]
	v_mul_f64 v[34:35], v[148:149], s[22:23]
	s_waitcnt vmcnt(0)
	v_add_f64 v[34:35], v[40:41], v[34:35]
	v_mul_f64 v[40:41], v[110:111], s[18:19]
	s_delay_alu instid0(VALU_DEP_1) | instskip(SKIP_1) | instid1(VALU_DEP_2)
	v_add_f64 v[40:41], v[42:43], v[40:41]
	v_mul_f64 v[42:43], v[172:173], s[16:17]
	v_add_f64 v[24:25], v[40:41], v[24:25]
	s_delay_alu instid0(VALU_DEP_2) | instskip(SKIP_2) | instid1(VALU_DEP_4)
	v_add_f64 v[42:43], v[42:43], -v[48:49]
	v_mul_f64 v[48:49], v[144:145], s[22:23]
	v_mul_f64 v[40:41], v[229:230], s[0:1]
	v_add_f64 v[24:25], v[34:35], v[24:25]
	v_mul_f64 v[34:35], v[120:121], s[10:11]
	s_delay_alu instid0(VALU_DEP_4)
	v_add_f64 v[48:49], v[48:49], -v[50:51]
	v_mul_f64 v[50:51], v[108:109], s[18:19]
	v_add_f64 v[40:41], v[40:41], -v[130:131]
	v_add_f64 v[24:25], v[32:33], v[24:25]
	v_mul_f64 v[32:33], v[118:119], s[10:11]
	v_add_f64 v[34:35], v[164:165], v[34:35]
	v_add_f64 v[50:51], v[50:51], -v[52:53]
	v_mul_f64 v[52:53], v[203:204], s[6:7]
	s_delay_alu instid0(VALU_DEP_4) | instskip(NEXT) | instid1(VALU_DEP_3)
	v_add_f64 v[32:33], v[32:33], -v[162:163]
	v_add_f64 v[26:27], v[50:51], v[26:27]
	s_delay_alu instid0(VALU_DEP_3)
	v_add_f64 v[52:53], v[243:244], v[52:53]
	scratch_load_b64 v[50:51], off, off offset:272 ; 8-byte Folded Reload
	v_add_f64 v[26:27], v[48:49], v[26:27]
	v_add_f64 v[24:25], v[52:53], v[24:25]
	s_clause 0x1
	scratch_load_b64 v[48:49], off, off offset:368
	scratch_load_b64 v[52:53], off, off offset:176
	v_add_f64 v[26:27], v[42:43], v[26:27]
	v_mul_f64 v[42:43], v[152:153], s[20:21]
	v_add_f64 v[24:25], v[56:57], v[24:25]
	v_mul_f64 v[56:57], v[231:232], s[20:21]
	s_delay_alu instid0(VALU_DEP_4) | instskip(NEXT) | instid1(VALU_DEP_4)
	v_add_f64 v[26:27], v[54:55], v[26:27]
	v_add_f64 v[42:43], v[189:190], v[42:43]
	s_delay_alu instid0(VALU_DEP_4)
	v_add_f64 v[24:25], v[34:35], v[24:25]
	scratch_load_b64 v[34:35], off, off offset:376 ; 8-byte Folded Reload
	v_mul_f64 v[54:55], v[201:202], s[8:9]
	v_add_f64 v[56:57], v[128:129], v[56:57]
	v_add_f64 v[26:27], v[40:41], v[26:27]
	v_mul_f64 v[40:41], v[150:151], s[20:21]
	s_delay_alu instid0(VALU_DEP_4) | instskip(NEXT) | instid1(VALU_DEP_3)
	v_add_f64 v[54:55], v[54:55], -v[237:238]
	v_add_f64 v[32:33], v[32:33], v[26:27]
	s_delay_alu instid0(VALU_DEP_3)
	v_add_f64 v[40:41], v[40:41], -v[187:188]
	v_add_f64 v[26:27], v[42:43], v[24:25]
	scratch_load_b64 v[42:43], off, off offset:184 ; 8-byte Folded Reload
	v_add_f64 v[24:25], v[40:41], v[32:33]
	scratch_load_b64 v[40:41], off, off offset:280 ; 8-byte Folded Reload
	v_mul_f64 v[32:33], v[177:178], s[0:1]
	s_waitcnt vmcnt(2)
	s_delay_alu instid0(VALU_DEP_1) | instskip(SKIP_2) | instid1(VALU_DEP_1)
	v_add_f64 v[32:33], v[34:35], v[32:33]
	v_mul_f64 v[34:35], v[148:149], s[16:17]
	s_waitcnt vmcnt(0)
	v_add_f64 v[34:35], v[40:41], v[34:35]
	v_mul_f64 v[40:41], v[110:111], s[22:23]
	s_delay_alu instid0(VALU_DEP_1) | instskip(SKIP_1) | instid1(VALU_DEP_2)
	v_add_f64 v[40:41], v[42:43], v[40:41]
	v_mul_f64 v[42:43], v[172:173], s[0:1]
	v_add_f64 v[28:29], v[40:41], v[28:29]
	s_delay_alu instid0(VALU_DEP_2) | instskip(SKIP_2) | instid1(VALU_DEP_4)
	v_add_f64 v[42:43], v[42:43], -v[48:49]
	v_mul_f64 v[48:49], v[144:145], s[16:17]
	v_mul_f64 v[40:41], v[229:230], s[20:21]
	v_add_f64 v[28:29], v[34:35], v[28:29]
	v_mul_f64 v[34:35], v[120:121], s[18:19]
	s_delay_alu instid0(VALU_DEP_4)
	v_add_f64 v[48:49], v[48:49], -v[50:51]
	v_mul_f64 v[50:51], v[108:109], s[22:23]
	v_add_f64 v[40:41], v[40:41], -v[126:127]
	v_add_f64 v[28:29], v[32:33], v[28:29]
	v_mul_f64 v[32:33], v[118:119], s[18:19]
	v_add_f64 v[34:35], v[160:161], v[34:35]
	v_add_f64 v[50:51], v[50:51], -v[52:53]
	v_mul_f64 v[52:53], v[203:204], s[8:9]
	s_delay_alu instid0(VALU_DEP_4) | instskip(NEXT) | instid1(VALU_DEP_3)
	v_add_f64 v[32:33], v[32:33], -v[158:159]
	v_add_f64 v[30:31], v[50:51], v[30:31]
	s_delay_alu instid0(VALU_DEP_3)
	v_add_f64 v[52:53], v[239:240], v[52:53]
	scratch_load_b64 v[50:51], off, off offset:256 ; 8-byte Folded Reload
	v_add_f64 v[30:31], v[48:49], v[30:31]
	v_add_f64 v[28:29], v[52:53], v[28:29]
	s_clause 0x1
	scratch_load_b64 v[48:49], off, off offset:352
	scratch_load_b64 v[52:53], off, off offset:160
	v_add_f64 v[30:31], v[42:43], v[30:31]
	v_mul_f64 v[42:43], v[152:153], s[6:7]
	v_add_f64 v[28:29], v[56:57], v[28:29]
	v_mul_f64 v[56:57], v[231:232], s[10:11]
	s_delay_alu instid0(VALU_DEP_4) | instskip(NEXT) | instid1(VALU_DEP_4)
	v_add_f64 v[30:31], v[54:55], v[30:31]
	v_add_f64 v[42:43], v[193:194], v[42:43]
	s_delay_alu instid0(VALU_DEP_4)
	v_add_f64 v[28:29], v[34:35], v[28:29]
	scratch_load_b64 v[34:35], off, off offset:360 ; 8-byte Folded Reload
	v_mul_f64 v[54:55], v[201:202], s[22:23]
	v_add_f64 v[56:57], v[124:125], v[56:57]
	v_add_f64 v[30:31], v[40:41], v[30:31]
	v_mul_f64 v[40:41], v[150:151], s[6:7]
	s_delay_alu instid0(VALU_DEP_4) | instskip(NEXT) | instid1(VALU_DEP_3)
	v_add_f64 v[54:55], v[54:55], -v[233:234]
	v_add_f64 v[32:33], v[32:33], v[30:31]
	s_delay_alu instid0(VALU_DEP_3)
	v_add_f64 v[40:41], v[40:41], -v[191:192]
	v_add_f64 v[30:31], v[42:43], v[28:29]
	scratch_load_b64 v[42:43], off, off offset:168 ; 8-byte Folded Reload
	v_add_f64 v[28:29], v[40:41], v[32:33]
	scratch_load_b64 v[40:41], off, off offset:264 ; 8-byte Folded Reload
	v_mul_f64 v[32:33], v[177:178], s[8:9]
	s_waitcnt vmcnt(2)
	s_delay_alu instid0(VALU_DEP_1) | instskip(SKIP_2) | instid1(VALU_DEP_1)
	v_add_f64 v[32:33], v[34:35], v[32:33]
	v_mul_f64 v[34:35], v[148:149], s[6:7]
	s_waitcnt vmcnt(0)
	v_add_f64 v[34:35], v[40:41], v[34:35]
	v_mul_f64 v[40:41], v[110:111], s[20:21]
	s_delay_alu instid0(VALU_DEP_1) | instskip(SKIP_1) | instid1(VALU_DEP_2)
	v_add_f64 v[40:41], v[42:43], v[40:41]
	v_mul_f64 v[42:43], v[172:173], s[8:9]
	v_add_f64 v[40:41], v[40:41], v[44:45]
	s_delay_alu instid0(VALU_DEP_2) | instskip(SKIP_1) | instid1(VALU_DEP_3)
	v_add_f64 v[42:43], v[42:43], -v[48:49]
	v_mul_f64 v[48:49], v[144:145], s[6:7]
	v_add_f64 v[34:35], v[34:35], v[40:41]
	s_delay_alu instid0(VALU_DEP_2) | instskip(SKIP_1) | instid1(VALU_DEP_3)
	v_add_f64 v[48:49], v[48:49], -v[50:51]
	v_mul_f64 v[50:51], v[108:109], s[20:21]
	v_add_f64 v[32:33], v[32:33], v[34:35]
	s_delay_alu instid0(VALU_DEP_2) | instskip(SKIP_1) | instid1(VALU_DEP_2)
	v_add_f64 v[50:51], v[50:51], -v[52:53]
	v_mul_f64 v[52:53], v[203:204], s[22:23]
	v_add_f64 v[44:45], v[50:51], v[46:47]
	s_delay_alu instid0(VALU_DEP_2)
	v_add_f64 v[52:53], v[235:236], v[52:53]
	v_mul_f64 v[46:47], v[229:230], s[10:11]
	scratch_load_b64 v[50:51], off, off offset:240 ; 8-byte Folded Reload
	v_add_f64 v[40:41], v[48:49], v[44:45]
	v_mul_f64 v[44:45], v[120:121], s[0:1]
	v_add_f64 v[32:33], v[52:53], v[32:33]
	v_add_f64 v[46:47], v[46:47], -v[122:123]
	s_clause 0x1
	scratch_load_b64 v[48:49], off, off offset:144
	scratch_load_b64 v[52:53], off, off offset:336
	v_add_f64 v[34:35], v[42:43], v[40:41]
	v_add_f64 v[44:45], v[156:157], v[44:45]
	v_mul_f64 v[40:41], v[118:119], s[0:1]
	v_mul_f64 v[42:43], v[152:153], s[18:19]
	v_add_f64 v[32:33], v[56:57], v[32:33]
	v_mul_f64 v[56:57], v[231:232], s[18:19]
	v_add_f64 v[34:35], v[54:55], v[34:35]
	v_mul_f64 v[54:55], v[201:202], s[16:17]
	v_add_f64 v[40:41], v[40:41], -v[154:155]
	v_add_f64 v[42:43], v[197:198], v[42:43]
	v_add_f64 v[32:33], v[44:45], v[32:33]
	scratch_load_b64 v[44:45], off, off offset:248 ; 8-byte Folded Reload
	v_add_f64 v[56:57], v[116:117], v[56:57]
	v_add_f64 v[34:35], v[46:47], v[34:35]
	v_mul_f64 v[46:47], v[150:151], s[18:19]
	v_add_f64 v[54:55], v[54:55], -v[223:224]
	s_delay_alu instid0(VALU_DEP_3) | instskip(SKIP_3) | instid1(VALU_DEP_1)
	v_add_f64 v[40:41], v[40:41], v[34:35]
	v_add_f64 v[34:35], v[42:43], v[32:33]
	scratch_load_b64 v[42:43], off, off offset:344 ; 8-byte Folded Reload
	v_add_f64 v[46:47], v[46:47], -v[195:196]
	v_add_f64 v[32:33], v[46:47], v[40:41]
	scratch_load_b64 v[46:47], off, off offset:152 ; 8-byte Folded Reload
	v_mul_f64 v[40:41], v[177:178], s[10:11]
	s_waitcnt vmcnt(1)
	s_delay_alu instid0(VALU_DEP_1) | instskip(SKIP_1) | instid1(VALU_DEP_1)
	v_add_f64 v[40:41], v[42:43], v[40:41]
	v_mul_f64 v[42:43], v[148:149], s[8:9]
	v_add_f64 v[42:43], v[44:45], v[42:43]
	v_mul_f64 v[44:45], v[110:111], s[6:7]
	s_waitcnt vmcnt(0)
	s_delay_alu instid0(VALU_DEP_1) | instskip(SKIP_1) | instid1(VALU_DEP_2)
	v_add_f64 v[44:45], v[46:47], v[44:45]
	v_mul_f64 v[46:47], v[108:109], s[6:7]
	v_add_f64 v[36:37], v[44:45], v[36:37]
	s_delay_alu instid0(VALU_DEP_2) | instskip(SKIP_2) | instid1(VALU_DEP_4)
	v_add_f64 v[46:47], v[46:47], -v[48:49]
	v_mul_f64 v[48:49], v[144:145], s[8:9]
	v_mul_f64 v[44:45], v[229:230], s[18:19]
	v_add_f64 v[36:37], v[42:43], v[36:37]
	s_delay_alu instid0(VALU_DEP_4) | instskip(NEXT) | instid1(VALU_DEP_4)
	v_add_f64 v[38:39], v[46:47], v[38:39]
	v_add_f64 v[48:49], v[48:49], -v[50:51]
	v_mul_f64 v[50:51], v[172:173], s[10:11]
	v_add_f64 v[44:45], v[44:45], -v[253:254]
	v_mul_f64 v[42:43], v[120:121], s[20:21]
	v_mul_f64 v[46:47], v[152:153], s[22:23]
	v_add_f64 v[36:37], v[40:41], v[36:37]
	v_mul_f64 v[40:41], v[118:119], s[20:21]
	v_add_f64 v[38:39], v[48:49], v[38:39]
	v_add_f64 v[50:51], v[50:51], -v[52:53]
	v_mul_f64 v[52:53], v[203:204], s[16:17]
	v_add_f64 v[42:43], v[142:143], v[42:43]
	v_add_f64 v[46:47], v[181:182], v[46:47]
	v_add_f64 v[40:41], v[40:41], -v[138:139]
	v_add_f64 v[38:39], v[50:51], v[38:39]
	v_add_f64 v[52:53], v[225:226], v[52:53]
	s_delay_alu instid0(VALU_DEP_2) | instskip(NEXT) | instid1(VALU_DEP_2)
	v_add_f64 v[38:39], v[54:55], v[38:39]
	v_add_f64 v[36:37], v[52:53], v[36:37]
	s_delay_alu instid0(VALU_DEP_2) | instskip(NEXT) | instid1(VALU_DEP_2)
	v_add_f64 v[38:39], v[44:45], v[38:39]
	v_add_f64 v[36:37], v[56:57], v[36:37]
	v_mul_f64 v[44:45], v[150:151], s[22:23]
	s_delay_alu instid0(VALU_DEP_3) | instskip(NEXT) | instid1(VALU_DEP_3)
	v_add_f64 v[40:41], v[40:41], v[38:39]
	v_add_f64 v[36:37], v[42:43], v[36:37]
	s_delay_alu instid0(VALU_DEP_3) | instskip(NEXT) | instid1(VALU_DEP_2)
	v_add_f64 v[44:45], v[44:45], -v[179:180]
	v_add_f64 v[38:39], v[46:47], v[36:37]
	s_delay_alu instid0(VALU_DEP_2) | instskip(SKIP_3) | instid1(VALU_DEP_1)
	v_add_f64 v[36:37], v[44:45], v[40:41]
	scratch_load_b32 v40, off, off offset:12 ; 4-byte Folded Reload
	s_waitcnt vmcnt(0)
	v_and_b32_e32 v40, 0xffff, v40
	v_lshlrev_b32_e32 v40, 4, v40
	ds_store_b128 v40, v[20:23] offset:32
	ds_store_b128 v40, v[24:27] offset:48
	;; [unrolled: 1-line block ×6, first 2 shown]
	ds_store_b128 v40, v[16:19]
	ds_store_b128 v40, v[100:103] offset:128
	ds_store_b128 v40, v[104:107] offset:144
	;; [unrolled: 1-line block ×10, first 2 shown]
.LBB0_7:
	s_or_b32 exec_lo, exec_lo, s24
	s_waitcnt lgkmcnt(0)
	s_waitcnt_vscnt null, 0x0
	s_barrier
	buffer_gl0_inv
	ds_load_b128 v[60:63], v255
	ds_load_b128 v[108:111], v255 offset:2448
	ds_load_b128 v[76:79], v255 offset:4896
	;; [unrolled: 1-line block ×6, first 2 shown]
	scratch_load_b32 v12, off, off          ; 4-byte Folded Reload
	s_waitcnt vmcnt(0)
	v_cmp_gt_u16_e64 s0, 34, v12
	s_delay_alu instid0(VALU_DEP_1)
	s_and_saveexec_b32 s1, s0
	s_cbranch_execz .LBB0_9
; %bb.8:
	ds_load_b128 v[84:87], v255 offset:1904
	ds_load_b128 v[100:103], v255 offset:4352
	;; [unrolled: 1-line block ×7, first 2 shown]
.LBB0_9:
	s_or_b32 exec_lo, exec_lo, s1
	scratch_load_b32 v16, off, off          ; 4-byte Folded Reload
	s_mov_b32 s6, 0x37e14327
	s_mov_b32 s8, 0x36b3c0b5
	;; [unrolled: 1-line block ×13, first 2 shown]
	s_waitcnt vmcnt(0)
	v_and_b32_e32 v12, 0xff, v16
	v_add_nc_u16 v13, v16, 0x77
	s_delay_alu instid0(VALU_DEP_2) | instskip(NEXT) | instid1(VALU_DEP_2)
	v_mul_lo_u16 v12, 0xf1, v12
	v_and_b32_e32 v14, 0xff, v13
	s_delay_alu instid0(VALU_DEP_2) | instskip(NEXT) | instid1(VALU_DEP_2)
	v_lshrrev_b16 v12, 12, v12
	v_mul_lo_u16 v14, 0xf1, v14
	s_delay_alu instid0(VALU_DEP_2) | instskip(NEXT) | instid1(VALU_DEP_2)
	v_mul_lo_u16 v15, v12, 17
	v_lshrrev_b16 v116, 12, v14
	v_and_b32_e32 v12, 0xffff, v12
	s_delay_alu instid0(VALU_DEP_3) | instskip(NEXT) | instid1(VALU_DEP_2)
	v_sub_nc_u16 v15, v16, v15
	v_mul_u32_u24_e32 v12, 0x77, v12
	s_delay_alu instid0(VALU_DEP_2) | instskip(SKIP_1) | instid1(VALU_DEP_2)
	v_and_b32_e32 v14, 0xff, v15
	v_mul_lo_u16 v15, v116, 17
	v_mul_u32_u24_e32 v16, 6, v14
	s_delay_alu instid0(VALU_DEP_2) | instskip(SKIP_2) | instid1(VALU_DEP_4)
	v_sub_nc_u16 v13, v13, v15
	v_add_lshl_u32 v176, v12, v14, 4
	v_and_b32_e32 v12, 0xffff, v116
	v_lshlrev_b32_e32 v15, 4, v16
	s_delay_alu instid0(VALU_DEP_4)
	v_and_b32_e32 v13, 0xff, v13
	s_clause 0x1
	global_load_b128 v[48:51], v15, s[2:3]
	global_load_b128 v[40:43], v15, s[2:3] offset:16
	scratch_store_b32 off, v13, off offset:16 ; 4-byte Folded Spill
	v_mul_u32_u24_e32 v13, 6, v13
	s_clause 0x1
	global_load_b128 v[44:47], v15, s[2:3] offset:80
	global_load_b128 v[36:39], v15, s[2:3] offset:64
	v_lshlrev_b32_e32 v13, 4, v13
	s_clause 0x7
	global_load_b128 v[20:23], v13, s[2:3]
	global_load_b128 v[16:19], v13, s[2:3] offset:16
	global_load_b128 v[24:27], v13, s[2:3] offset:80
	;; [unrolled: 1-line block ×7, first 2 shown]
	scratch_store_b32 off, v12, off offset:24 ; 4-byte Folded Spill
	s_waitcnt vmcnt(11) lgkmcnt(5)
	v_mul_f64 v[117:118], v[110:111], v[50:51]
	v_mul_f64 v[119:120], v[108:109], v[50:51]
	s_waitcnt vmcnt(10) lgkmcnt(4)
	v_mul_f64 v[121:122], v[78:79], v[42:43]
	v_mul_f64 v[123:124], v[76:77], v[42:43]
	;; [unrolled: 3-line block ×3, first 2 shown]
	s_waitcnt vmcnt(8)
	v_mul_f64 v[129:130], v[74:75], v[38:39]
	v_mul_f64 v[131:132], v[72:73], v[38:39]
	s_waitcnt vmcnt(7)
	v_mul_f64 v[133:134], v[102:103], v[22:23]
	v_mul_f64 v[135:136], v[100:101], v[22:23]
	;; [unrolled: 3-line block ×7, first 2 shown]
	s_clause 0x2
	scratch_store_b128 off, v[20:23], off offset:48
	scratch_store_b128 off, v[24:27], off offset:64
	;; [unrolled: 1-line block ×3, first 2 shown]
	s_waitcnt vmcnt(0)
	scratch_store_b128 off, v[157:160], off offset:80 ; 16-byte Folded Spill
	v_fma_f64 v[108:109], v[108:109], v[48:49], -v[117:118]
	v_fma_f64 v[110:111], v[110:111], v[48:49], v[119:120]
	v_fma_f64 v[76:77], v[76:77], v[40:41], -v[121:122]
	v_fma_f64 v[78:79], v[78:79], v[40:41], v[123:124]
	;; [unrolled: 2-line block ×4, first 2 shown]
	v_mul_f64 v[117:118], v[98:99], v[30:31]
	v_mul_f64 v[119:120], v[96:97], v[30:31]
	;; [unrolled: 1-line block ×4, first 2 shown]
	v_fma_f64 v[100:101], v[100:101], v[20:21], -v[133:134]
	v_fma_f64 v[102:103], v[102:103], v[20:21], v[135:136]
	v_fma_f64 v[104:105], v[104:105], v[16:17], -v[137:138]
	v_fma_f64 v[106:107], v[106:107], v[16:17], v[139:140]
	v_fma_f64 v[80:81], v[80:81], v[24:25], -v[141:142]
	v_fma_f64 v[82:83], v[82:83], v[24:25], v[143:144]
	v_fma_f64 v[88:89], v[88:89], v[32:33], -v[145:146]
	v_fma_f64 v[90:91], v[90:91], v[32:33], v[147:148]
	v_fma_f64 v[68:69], v[68:69], v[56:57], -v[149:150]
	v_fma_f64 v[70:71], v[70:71], v[56:57], v[151:152]
	v_fma_f64 v[64:65], v[64:65], v[52:53], -v[153:154]
	v_fma_f64 v[66:67], v[66:67], v[52:53], v[155:156]
	v_add_f64 v[125:126], v[108:109], v[112:113]
	v_add_f64 v[127:128], v[110:111], v[114:115]
	;; [unrolled: 1-line block ×4, first 2 shown]
	v_fma_f64 v[96:97], v[96:97], v[28:29], -v[117:118]
	v_fma_f64 v[98:99], v[98:99], v[28:29], v[119:120]
	v_fma_f64 v[92:93], v[92:93], v[157:158], -v[121:122]
	v_fma_f64 v[94:95], v[94:95], v[157:158], v[123:124]
	v_add_f64 v[72:73], v[76:77], -v[72:73]
	v_add_f64 v[74:75], v[78:79], -v[74:75]
	v_add_f64 v[117:118], v[100:101], v[80:81]
	v_add_f64 v[119:120], v[102:103], v[82:83]
	;; [unrolled: 1-line block ×4, first 2 shown]
	v_add_f64 v[88:89], v[104:105], -v[88:89]
	v_add_f64 v[90:91], v[106:107], -v[90:91]
	v_add_f64 v[76:77], v[68:69], v[64:65]
	v_add_f64 v[78:79], v[70:71], v[66:67]
	v_add_f64 v[64:65], v[64:65], -v[68:69]
	v_add_f64 v[66:67], v[66:67], -v[70:71]
	;; [unrolled: 1-line block ×6, first 2 shown]
	v_add_f64 v[108:109], v[129:130], v[125:126]
	v_add_f64 v[110:111], v[131:132], v[127:128]
	;; [unrolled: 1-line block ×4, first 2 shown]
	v_add_f64 v[92:93], v[92:93], -v[96:97]
	v_add_f64 v[94:95], v[94:95], -v[98:99]
	v_add_f64 v[96:97], v[121:122], v[117:118]
	v_add_f64 v[98:99], v[123:124], v[119:120]
	v_add_f64 v[100:101], v[125:126], -v[76:77]
	v_add_f64 v[102:103], v[127:128], -v[78:79]
	;; [unrolled: 1-line block ×10, first 2 shown]
	v_add_f64 v[108:109], v[76:77], v[108:109]
	v_add_f64 v[110:111], v[78:79], v[110:111]
	v_add_f64 v[76:77], v[76:77], -v[129:130]
	v_add_f64 v[78:79], v[78:79], -v[131:132]
	;; [unrolled: 1-line block ×6, first 2 shown]
	v_add_f64 v[129:130], v[64:65], v[72:73]
	v_add_f64 v[131:132], v[66:67], v[74:75]
	v_add_f64 v[64:65], v[68:69], -v[64:65]
	v_add_f64 v[66:67], v[70:71], -v[66:67]
	v_add_f64 v[96:97], v[104:105], v[96:97]
	v_add_f64 v[98:99], v[106:107], v[98:99]
	v_add_f64 v[104:105], v[104:105], -v[121:122]
	v_add_f64 v[106:107], v[106:107], -v[123:124]
	v_add_f64 v[88:89], v[92:93], v[88:89]
	v_add_f64 v[90:91], v[94:95], v[90:91]
	v_mul_f64 v[100:101], v[100:101], s[6:7]
	v_mul_f64 v[102:103], v[102:103], s[6:7]
	;; [unrolled: 1-line block ×4, first 2 shown]
	v_add_f64 v[117:118], v[121:122], -v[117:118]
	v_add_f64 v[119:120], v[123:124], -v[119:120]
	v_mul_f64 v[121:122], v[133:134], s[16:17]
	v_mul_f64 v[123:124], v[135:136], s[16:17]
	v_add_f64 v[92:93], v[80:81], -v[92:93]
	v_add_f64 v[94:95], v[82:83], -v[94:95]
	v_mul_f64 v[153:154], v[145:146], s[16:17]
	v_mul_f64 v[155:156], v[147:148], s[16:17]
	v_add_f64 v[72:73], v[60:61], v[108:109]
	v_add_f64 v[74:75], v[62:63], v[110:111]
	v_mul_f64 v[149:150], v[76:77], s[8:9]
	v_mul_f64 v[151:152], v[78:79], s[8:9]
	;; [unrolled: 1-line block ×6, first 2 shown]
	s_mov_b32 s6, 0xaaaaaaaa
	s_mov_b32 s10, 0x5476071b
	;; [unrolled: 1-line block ×4, first 2 shown]
	v_add_f64 v[60:61], v[84:85], v[96:97]
	v_add_f64 v[62:63], v[86:87], v[98:99]
	v_mul_f64 v[84:85], v[104:105], s[8:9]
	v_mul_f64 v[86:87], v[106:107], s[8:9]
	s_mov_b32 s18, s10
	v_add_f64 v[68:69], v[129:130], v[68:69]
	v_add_f64 v[70:71], v[131:132], v[70:71]
	;; [unrolled: 1-line block ×4, first 2 shown]
	v_fma_f64 v[76:77], v[76:77], s[8:9], v[100:101]
	v_fma_f64 v[78:79], v[78:79], s[8:9], v[102:103]
	;; [unrolled: 1-line block ×4, first 2 shown]
	v_fma_f64 v[112:113], v[133:134], s[16:17], -v[112:113]
	v_fma_f64 v[114:115], v[135:136], s[16:17], -v[114:115]
	;; [unrolled: 1-line block ×8, first 2 shown]
	v_fma_f64 v[108:109], v[108:109], s[6:7], v[72:73]
	v_fma_f64 v[110:111], v[110:111], s[6:7], v[74:75]
	v_fma_f64 v[121:122], v[125:126], s[10:11], -v[149:150]
	v_fma_f64 v[123:124], v[127:128], s[10:11], -v[151:152]
	;; [unrolled: 1-line block ×6, first 2 shown]
	v_fma_f64 v[92:93], v[92:93], s[20:21], v[141:142]
	v_fma_f64 v[94:95], v[94:95], s[20:21], v[143:144]
	;; [unrolled: 1-line block ×6, first 2 shown]
	v_fma_f64 v[84:85], v[117:118], s[10:11], -v[84:85]
	v_fma_f64 v[86:87], v[119:120], s[10:11], -v[86:87]
	s_mov_b32 s6, 0x37c3f68c
	s_mov_b32 s7, 0x3fdc38aa
	s_delay_alu instid0(SALU_CYCLE_1)
	v_fma_f64 v[119:120], v[68:69], s[6:7], v[88:89]
	v_fma_f64 v[117:118], v[70:71], s[6:7], v[90:91]
	;; [unrolled: 1-line block ×6, first 2 shown]
	v_add_f64 v[137:138], v[76:77], v[108:109]
	v_add_f64 v[139:140], v[78:79], v[110:111]
	;; [unrolled: 1-line block ×6, first 2 shown]
	v_fma_f64 v[121:122], v[80:81], s[6:7], v[129:130]
	v_fma_f64 v[123:124], v[82:83], s[6:7], v[131:132]
	v_fma_f64 v[129:130], v[80:81], s[6:7], v[133:134]
	v_fma_f64 v[131:132], v[82:83], s[6:7], v[135:136]
	v_fma_f64 v[68:69], v[80:81], s[6:7], v[92:93]
	v_fma_f64 v[64:65], v[82:83], s[6:7], v[94:95]
	v_add_f64 v[125:126], v[125:126], v[96:97]
	v_add_f64 v[127:128], v[127:128], v[98:99]
	;; [unrolled: 1-line block ×6, first 2 shown]
	s_load_b128 s[4:7], s[4:5], 0x0
	s_waitcnt lgkmcnt(0)
	s_waitcnt_vscnt null, 0x0
	s_barrier
	buffer_gl0_inv
	v_add_f64 v[76:77], v[117:118], v[137:138]
	v_add_f64 v[78:79], v[139:140], -v[119:120]
	v_add_f64 v[80:81], v[112:113], v[100:101]
	v_add_f64 v[82:83], v[102:103], -v[114:115]
	v_add_f64 v[84:85], v[108:109], -v[88:89]
	v_add_f64 v[86:87], v[90:91], v[110:111]
	v_add_f64 v[88:89], v[88:89], v[108:109]
	v_add_f64 v[90:91], v[110:111], -v[90:91]
	v_add_f64 v[112:113], v[100:101], -v[112:113]
	v_add_f64 v[114:115], v[114:115], v[102:103]
	v_add_f64 v[117:118], v[137:138], -v[117:118]
	v_add_f64 v[119:120], v[119:120], v[139:140]
	v_add_f64 v[108:109], v[131:132], v[125:126]
	v_add_f64 v[110:111], v[127:128], -v[129:130]
	v_add_f64 v[104:105], v[133:134], -v[123:124]
	v_add_f64 v[106:107], v[121:122], v[135:136]
	v_add_f64 v[100:101], v[123:124], v[133:134]
	v_add_f64 v[102:103], v[135:136], -v[121:122]
	v_add_f64 v[96:97], v[125:126], -v[131:132]
	v_add_f64 v[98:99], v[129:130], v[127:128]
	v_add_f64 v[92:93], v[66:67], -v[64:65]
	v_add_f64 v[94:95], v[68:69], v[70:71]
	ds_store_b128 v176, v[72:75]
	ds_store_b128 v176, v[76:79] offset:272
	ds_store_b128 v176, v[80:83] offset:544
	;; [unrolled: 1-line block ×6, first 2 shown]
	s_and_saveexec_b32 s1, s0
	s_cbranch_execz .LBB0_11
; %bb.10:
	s_clause 0x1
	scratch_load_b32 v12, off, off offset:24
	scratch_load_b32 v13, off, off offset:16
	v_add_f64 v[68:69], v[70:71], -v[68:69]
	v_add_f64 v[66:67], v[64:65], v[66:67]
	s_waitcnt vmcnt(1)
	v_mul_u32_u24_e32 v12, 0x77, v12
	s_waitcnt vmcnt(0)
	s_delay_alu instid0(VALU_DEP_1)
	v_add_lshl_u32 v12, v12, v13, 4
	ds_store_b128 v12, v[108:111] offset:544
	ds_store_b128 v12, v[104:107] offset:816
	ds_store_b128 v12, v[100:103] offset:1088
	ds_store_b128 v12, v[96:99] offset:1360
	ds_store_b128 v12, v[60:63]
	ds_store_b128 v12, v[66:69] offset:272
	ds_store_b128 v12, v[92:95] offset:1632
.LBB0_11:
	s_or_b32 exec_lo, exec_lo, s1
	scratch_load_b32 v12, off, off          ; 4-byte Folded Reload
	s_waitcnt vmcnt(0) lgkmcnt(0)
	s_barrier
	buffer_gl0_inv
	s_mov_b32 s9, 0x3fe491b7
	s_mov_b32 s8, 0x523c161c
	s_mov_b32 s10, 0xa2cf5039
	s_mov_b32 s11, 0x3fe8836f
	s_mov_b32 s16, 0x42522d1b
	s_mov_b32 s17, 0xbfee11f6
	v_lshlrev_b32_e32 v12, 7, v12
	s_clause 0x7
	global_load_b128 v[68:71], v12, s[2:3] offset:1632
	global_load_b128 v[80:83], v12, s[2:3] offset:1744
	;; [unrolled: 1-line block ×8, first 2 shown]
	ds_load_b128 v[112:115], v255 offset:1904
	ds_load_b128 v[116:119], v255 offset:15232
	;; [unrolled: 1-line block ×7, first 2 shown]
	s_mov_b32 s2, 0x8c811c17
	s_mov_b32 s3, 0x3fef838b
	s_waitcnt vmcnt(7) lgkmcnt(6)
	v_mul_f64 v[140:141], v[114:115], v[70:71]
	v_mul_f64 v[142:143], v[112:113], v[70:71]
	s_waitcnt vmcnt(6) lgkmcnt(5)
	v_mul_f64 v[144:145], v[118:119], v[82:83]
	v_mul_f64 v[146:147], v[116:117], v[82:83]
	;; [unrolled: 3-line block ×3, first 2 shown]
	s_waitcnt vmcnt(4) lgkmcnt(3)
	v_mul_f64 v[152:153], v[126:127], v[74:75]
	s_waitcnt vmcnt(3) lgkmcnt(2)
	v_mul_f64 v[154:155], v[130:131], v[90:91]
	v_mul_f64 v[156:157], v[124:125], v[74:75]
	;; [unrolled: 1-line block ×3, first 2 shown]
	s_waitcnt vmcnt(2) lgkmcnt(1)
	v_mul_f64 v[160:161], v[134:135], v[86:87]
	v_mul_f64 v[162:163], v[132:133], v[86:87]
	v_fma_f64 v[140:141], v[112:113], v[68:69], -v[140:141]
	v_fma_f64 v[142:143], v[114:115], v[68:69], v[142:143]
	v_fma_f64 v[116:117], v[116:117], v[80:81], -v[144:145]
	v_fma_f64 v[118:119], v[118:119], v[80:81], v[146:147]
	;; [unrolled: 2-line block ×3, first 2 shown]
	v_fma_f64 v[124:125], v[124:125], v[72:73], -v[152:153]
	v_fma_f64 v[128:129], v[128:129], v[88:89], -v[154:155]
	v_fma_f64 v[126:127], v[126:127], v[72:73], v[156:157]
	v_fma_f64 v[130:131], v[130:131], v[88:89], v[158:159]
	v_fma_f64 v[144:145], v[132:133], v[84:85], -v[160:161]
	v_fma_f64 v[146:147], v[134:135], v[84:85], v[162:163]
	ds_load_b128 v[112:115], v255 offset:11424
	ds_load_b128 v[132:135], v255
	s_waitcnt vmcnt(1) lgkmcnt(2)
	v_mul_f64 v[148:149], v[138:139], v[66:67]
	v_mul_f64 v[150:151], v[136:137], v[66:67]
	s_waitcnt vmcnt(0) lgkmcnt(1)
	v_mul_f64 v[152:153], v[114:115], v[62:63]
	v_mul_f64 v[154:155], v[112:113], v[62:63]
	v_add_f64 v[156:157], v[140:141], -v[116:117]
	v_add_f64 v[158:159], v[142:143], -v[118:119]
	v_add_f64 v[116:117], v[140:141], v[116:117]
	v_add_f64 v[118:119], v[142:143], v[118:119]
	;; [unrolled: 1-line block ×3, first 2 shown]
	v_add_f64 v[142:143], v[124:125], -v[128:129]
	v_add_f64 v[160:161], v[126:127], -v[130:131]
	v_add_f64 v[162:163], v[120:121], v[144:145]
	v_add_f64 v[164:165], v[122:123], v[146:147]
	;; [unrolled: 1-line block ×3, first 2 shown]
	v_add_f64 v[120:121], v[120:121], -v[144:145]
	v_add_f64 v[122:123], v[122:123], -v[146:147]
	v_fma_f64 v[136:137], v[136:137], v[64:65], -v[148:149]
	v_fma_f64 v[138:139], v[138:139], v[64:65], v[150:151]
	v_fma_f64 v[112:113], v[112:113], v[60:61], -v[152:153]
	v_fma_f64 v[114:115], v[114:115], v[60:61], v[154:155]
	v_mul_f64 v[144:145], v[156:157], s[8:9]
	v_mul_f64 v[146:147], v[158:159], s[8:9]
	s_mov_b32 s9, 0xbfe491b7
	s_waitcnt lgkmcnt(0)
	v_fma_f64 v[148:149], v[116:117], s[10:11], v[132:133]
	v_fma_f64 v[150:151], v[118:119], s[10:11], v[134:135]
	;; [unrolled: 1-line block ×3, first 2 shown]
	v_mul_f64 v[154:155], v[142:143], s[2:3]
	v_mul_f64 v[168:169], v[160:161], s[2:3]
	v_fma_f64 v[170:171], v[162:163], s[10:11], v[132:133]
	v_fma_f64 v[172:173], v[164:165], s[10:11], v[134:135]
	;; [unrolled: 1-line block ×3, first 2 shown]
	v_mul_f64 v[177:178], v[160:161], s[8:9]
	v_mul_f64 v[179:180], v[142:143], s[8:9]
	s_mov_b32 s10, 0x7e0b738b
	s_mov_b32 s11, 0x3fc63a1a
	v_add_f64 v[185:186], v[162:163], v[116:117]
	v_add_f64 v[187:188], v[164:165], v[118:119]
	;; [unrolled: 1-line block ×4, first 2 shown]
	v_add_f64 v[112:113], v[136:137], -v[112:113]
	v_add_f64 v[114:115], v[138:139], -v[114:115]
	v_fma_f64 v[136:137], v[120:121], s[2:3], v[144:145]
	v_fma_f64 v[138:139], v[122:123], s[2:3], v[146:147]
	v_fma_f64 v[144:145], v[162:163], s[10:11], v[148:149]
	v_fma_f64 v[146:147], v[164:165], s[10:11], v[150:151]
	v_fma_f64 v[148:149], v[116:117], s[10:11], v[152:153]
	v_fma_f64 v[150:151], v[120:121], s[8:9], -v[154:155]
	v_fma_f64 v[152:153], v[122:123], s[8:9], -v[168:169]
	v_fma_f64 v[154:155], v[140:141], s[10:11], v[170:171]
	v_fma_f64 v[168:169], v[166:167], s[10:11], v[172:173]
	;; [unrolled: 1-line block ×5, first 2 shown]
	s_mov_b32 s2, 0xe8584cab
	s_mov_b32 s3, 0x3febb67a
	;; [unrolled: 1-line block ×4, first 2 shown]
	v_add_f64 v[177:178], v[142:143], v[156:157]
	v_add_f64 v[179:180], v[160:161], v[158:159]
	;; [unrolled: 1-line block ×4, first 2 shown]
	s_mov_b32 s10, 0x748a0bf8
	s_mov_b32 s11, 0x3fd5e3a8
	v_add_f64 v[189:190], v[132:133], v[181:182]
	v_add_f64 v[191:192], v[134:135], v[183:184]
	;; [unrolled: 1-line block ×4, first 2 shown]
	v_fma_f64 v[136:137], v[112:113], s[2:3], v[136:137]
	v_fma_f64 v[138:139], v[114:115], s[2:3], v[138:139]
	v_fma_f64 v[144:145], v[181:182], -0.5, v[144:145]
	v_fma_f64 v[146:147], v[183:184], -0.5, v[146:147]
	;; [unrolled: 1-line block ×3, first 2 shown]
	v_fma_f64 v[150:151], v[112:113], s[2:3], v[150:151]
	v_fma_f64 v[152:153], v[114:115], s[2:3], v[152:153]
	v_fma_f64 v[154:155], v[181:182], -0.5, v[154:155]
	v_fma_f64 v[168:169], v[183:184], -0.5, v[168:169]
	;; [unrolled: 1-line block ×3, first 2 shown]
	v_fma_f64 v[114:115], v[114:115], s[8:9], v[172:173]
	v_fma_f64 v[112:113], v[112:113], s[8:9], v[174:175]
	v_add_f64 v[172:173], v[177:178], -v[120:121]
	v_add_f64 v[174:175], v[179:180], -v[122:123]
	v_fma_f64 v[177:178], v[193:194], -0.5, v[189:190]
	v_fma_f64 v[179:180], v[195:196], -0.5, v[191:192]
	v_add_f64 v[124:125], v[124:125], v[185:186]
	v_add_f64 v[126:127], v[126:127], v[187:188]
	v_fma_f64 v[142:143], v[142:143], s[10:11], v[136:137]
	v_fma_f64 v[160:161], v[160:161], s[10:11], v[138:139]
	;; [unrolled: 1-line block ×12, first 2 shown]
	v_mul_f64 v[156:157], v[172:173], s[2:3]
	v_mul_f64 v[158:159], v[174:175], s[2:3]
	v_add_f64 v[112:113], v[128:129], v[124:125]
	v_add_f64 v[114:115], v[130:131], v[126:127]
	v_fma_f64 v[124:125], v[174:175], s[2:3], v[177:178]
	v_fma_f64 v[126:127], v[172:173], s[8:9], v[179:180]
	v_add_f64 v[116:117], v[160:161], v[136:137]
	v_add_f64 v[128:129], v[148:149], v[144:145]
	v_add_f64 v[130:131], v[118:119], -v[146:147]
	v_add_f64 v[118:119], v[138:139], -v[142:143]
	v_add_f64 v[120:121], v[152:153], v[140:141]
	v_add_f64 v[122:123], v[150:151], -v[154:155]
	v_add_f64 v[112:113], v[132:133], v[112:113]
	v_add_f64 v[114:115], v[134:135], v[114:115]
	v_fma_f64 v[136:137], v[158:159], -2.0, v[124:125]
	v_fma_f64 v[138:139], v[156:157], 2.0, v[126:127]
	v_fma_f64 v[144:145], v[160:161], -2.0, v[116:117]
	v_fma_f64 v[132:133], v[148:149], -2.0, v[128:129]
	v_fma_f64 v[134:135], v[146:147], 2.0, v[130:131]
	v_fma_f64 v[146:147], v[142:143], 2.0, v[118:119]
	v_fma_f64 v[140:141], v[152:153], -2.0, v[120:121]
	v_fma_f64 v[142:143], v[154:155], 2.0, v[122:123]
	ds_store_b128 v255, v[112:115]
	ds_store_b128 v255, v[116:119] offset:1904
	ds_store_b128 v255, v[120:123] offset:3808
	;; [unrolled: 1-line block ×8, first 2 shown]
	s_waitcnt lgkmcnt(0)
	s_barrier
	buffer_gl0_inv
	s_and_saveexec_b32 s2, vcc_lo
	s_cbranch_execz .LBB0_13
; %bb.12:
	v_add_co_u32 v168, s1, s12, v255
	s_delay_alu instid0(VALU_DEP_1) | instskip(NEXT) | instid1(VALU_DEP_2)
	v_add_co_ci_u32_e64 v169, null, s13, 0, s1
	v_add_co_u32 v148, s1, 0x4000, v168
	s_delay_alu instid0(VALU_DEP_1) | instskip(SKIP_1) | instid1(VALU_DEP_1)
	v_add_co_ci_u32_e64 v149, s1, 0, v169, s1
	v_add_co_u32 v164, s1, 0x42f0, v168
	v_add_co_ci_u32_e64 v165, s1, 0, v169, s1
	global_load_b128 v[148:151], v[148:149], off offset:752
	v_add_co_u32 v174, s1, 0x5000, v168
	s_clause 0x3
	global_load_b128 v[152:155], v[164:165], off offset:1008
	global_load_b128 v[156:159], v[164:165], off offset:2016
	;; [unrolled: 1-line block ×4, first 2 shown]
	v_add_co_ci_u32_e64 v175, s1, 0, v169, s1
	v_add_co_u32 v201, s1, 0x6000, v168
	s_delay_alu instid0(VALU_DEP_1)
	v_add_co_ci_u32_e64 v202, s1, 0, v169, s1
	global_load_b128 v[170:173], v[174:175], off offset:1696
	ds_load_b128 v[177:180], v255
	ds_load_b128 v[181:184], v255 offset:1008
	s_waitcnt vmcnt(5) lgkmcnt(1)
	v_mul_f64 v[185:186], v[179:180], v[150:151]
	v_mul_f64 v[150:151], v[177:178], v[150:151]
	s_delay_alu instid0(VALU_DEP_2) | instskip(SKIP_3) | instid1(VALU_DEP_4)
	v_fma_f64 v[177:178], v[177:178], v[148:149], -v[185:186]
	s_waitcnt vmcnt(4) lgkmcnt(0)
	v_mul_f64 v[185:186], v[183:184], v[154:155]
	v_mul_f64 v[154:155], v[181:182], v[154:155]
	v_fma_f64 v[179:180], v[179:180], v[148:149], v[150:151]
	ds_load_b128 v[148:151], v255 offset:2016
	v_fma_f64 v[181:182], v[181:182], v[152:153], -v[185:186]
	v_fma_f64 v[183:184], v[183:184], v[152:153], v[154:155]
	ds_load_b128 v[152:155], v255 offset:3024
	s_waitcnt vmcnt(3) lgkmcnt(1)
	v_mul_f64 v[185:186], v[150:151], v[158:159]
	v_mul_f64 v[158:159], v[148:149], v[158:159]
	s_delay_alu instid0(VALU_DEP_2) | instskip(SKIP_3) | instid1(VALU_DEP_4)
	v_fma_f64 v[148:149], v[148:149], v[156:157], -v[185:186]
	s_waitcnt vmcnt(2) lgkmcnt(0)
	v_mul_f64 v[185:186], v[154:155], v[162:163]
	v_mul_f64 v[162:163], v[152:153], v[162:163]
	v_fma_f64 v[150:151], v[150:151], v[156:157], v[158:159]
	ds_load_b128 v[156:159], v255 offset:4032
	v_fma_f64 v[152:153], v[152:153], v[160:161], -v[185:186]
	v_fma_f64 v[154:155], v[154:155], v[160:161], v[162:163]
	ds_load_b128 v[160:163], v255 offset:5040
	s_waitcnt vmcnt(1) lgkmcnt(1)
	v_mul_f64 v[185:186], v[158:159], v[166:167]
	v_mul_f64 v[166:167], v[156:157], v[166:167]
	s_delay_alu instid0(VALU_DEP_2) | instskip(NEXT) | instid1(VALU_DEP_2)
	v_fma_f64 v[156:157], v[156:157], v[164:165], -v[185:186]
	v_fma_f64 v[158:159], v[158:159], v[164:165], v[166:167]
	s_waitcnt vmcnt(0) lgkmcnt(0)
	v_mul_f64 v[185:186], v[162:163], v[172:173]
	global_load_b128 v[164:167], v[174:175], off offset:2704
	v_mul_f64 v[172:173], v[160:161], v[172:173]
	v_fma_f64 v[160:161], v[160:161], v[170:171], -v[185:186]
	s_delay_alu instid0(VALU_DEP_2)
	v_fma_f64 v[162:163], v[162:163], v[170:171], v[172:173]
	global_load_b128 v[170:173], v[174:175], off offset:3712
	ds_load_b128 v[185:188], v255 offset:6048
	ds_load_b128 v[189:192], v255 offset:7056
	s_waitcnt vmcnt(1) lgkmcnt(1)
	v_mul_f64 v[174:175], v[187:188], v[166:167]
	v_mul_f64 v[166:167], v[185:186], v[166:167]
	s_delay_alu instid0(VALU_DEP_2) | instskip(NEXT) | instid1(VALU_DEP_2)
	v_fma_f64 v[185:186], v[185:186], v[164:165], -v[174:175]
	v_fma_f64 v[187:188], v[187:188], v[164:165], v[166:167]
	s_waitcnt vmcnt(0) lgkmcnt(0)
	v_mul_f64 v[164:165], v[191:192], v[172:173]
	v_mul_f64 v[166:167], v[189:190], v[172:173]
	s_delay_alu instid0(VALU_DEP_2) | instskip(NEXT) | instid1(VALU_DEP_2)
	v_fma_f64 v[164:165], v[189:190], v[170:171], -v[164:165]
	v_fma_f64 v[166:167], v[191:192], v[170:171], v[166:167]
	s_clause 0x1
	global_load_b128 v[170:173], v[201:202], off offset:624
	global_load_b128 v[189:192], v[201:202], off offset:1632
	ds_load_b128 v[193:196], v255 offset:8064
	ds_load_b128 v[197:200], v255 offset:9072
	s_waitcnt vmcnt(1) lgkmcnt(1)
	v_mul_f64 v[174:175], v[195:196], v[172:173]
	v_mul_f64 v[203:204], v[193:194], v[172:173]
	s_delay_alu instid0(VALU_DEP_2) | instskip(NEXT) | instid1(VALU_DEP_2)
	v_fma_f64 v[172:173], v[193:194], v[170:171], -v[174:175]
	v_fma_f64 v[174:175], v[195:196], v[170:171], v[203:204]
	s_waitcnt vmcnt(0) lgkmcnt(0)
	v_mul_f64 v[170:171], v[199:200], v[191:192]
	v_mul_f64 v[193:194], v[197:198], v[191:192]
	s_delay_alu instid0(VALU_DEP_2) | instskip(NEXT) | instid1(VALU_DEP_2)
	v_fma_f64 v[191:192], v[197:198], v[189:190], -v[170:171]
	v_fma_f64 v[193:194], v[199:200], v[189:190], v[193:194]
	s_clause 0x1
	global_load_b128 v[195:198], v[201:202], off offset:2640
	global_load_b128 v[199:202], v[201:202], off offset:3648
	ds_load_b128 v[203:206], v255 offset:10080
	ds_load_b128 v[207:210], v255 offset:11088
	s_waitcnt vmcnt(1) lgkmcnt(1)
	v_mul_f64 v[170:171], v[205:206], v[197:198]
	v_mul_f64 v[189:190], v[203:204], v[197:198]
	s_delay_alu instid0(VALU_DEP_2) | instskip(SKIP_2) | instid1(VALU_DEP_3)
	v_fma_f64 v[203:204], v[203:204], v[195:196], -v[170:171]
	s_waitcnt vmcnt(0) lgkmcnt(0)
	v_mul_f64 v[170:171], v[209:210], v[201:202]
	v_fma_f64 v[205:206], v[205:206], v[195:196], v[189:190]
	v_mul_f64 v[189:190], v[207:208], v[201:202]
	s_delay_alu instid0(VALU_DEP_3) | instskip(SKIP_1) | instid1(VALU_DEP_1)
	v_fma_f64 v[195:196], v[207:208], v[199:200], -v[170:171]
	v_add_co_u32 v170, s1, 0x7000, v168
	v_add_co_ci_u32_e64 v171, s1, 0, v169, s1
	s_delay_alu instid0(VALU_DEP_4)
	v_fma_f64 v[197:198], v[209:210], v[199:200], v[189:190]
	s_clause 0x1
	global_load_b128 v[199:202], v[170:171], off offset:560
	global_load_b128 v[207:210], v[170:171], off offset:1568
	ds_load_b128 v[211:214], v255 offset:12096
	ds_load_b128 v[215:218], v255 offset:13104
	v_add_co_u32 v168, s1, 0x8000, v168
	s_delay_alu instid0(VALU_DEP_1) | instskip(SKIP_3) | instid1(VALU_DEP_2)
	v_add_co_ci_u32_e64 v169, s1, 0, v169, s1
	s_waitcnt vmcnt(1) lgkmcnt(1)
	v_mul_f64 v[189:190], v[213:214], v[201:202]
	v_mul_f64 v[201:202], v[211:212], v[201:202]
	v_fma_f64 v[211:212], v[211:212], v[199:200], -v[189:190]
	s_delay_alu instid0(VALU_DEP_2) | instskip(SKIP_3) | instid1(VALU_DEP_2)
	v_fma_f64 v[213:214], v[213:214], v[199:200], v[201:202]
	s_waitcnt vmcnt(0) lgkmcnt(0)
	v_mul_f64 v[189:190], v[217:218], v[209:210]
	v_mul_f64 v[201:202], v[215:216], v[209:210]
	v_fma_f64 v[199:200], v[215:216], v[207:208], -v[189:190]
	s_delay_alu instid0(VALU_DEP_2)
	v_fma_f64 v[201:202], v[217:218], v[207:208], v[201:202]
	s_clause 0x1
	global_load_b128 v[207:210], v[170:171], off offset:2576
	global_load_b128 v[215:218], v[170:171], off offset:3584
	ds_load_b128 v[219:222], v255 offset:14112
	ds_load_b128 v[223:226], v255 offset:15120
	s_waitcnt vmcnt(1) lgkmcnt(1)
	v_mul_f64 v[170:171], v[221:222], v[209:210]
	v_mul_f64 v[189:190], v[219:220], v[209:210]
	s_delay_alu instid0(VALU_DEP_2) | instskip(SKIP_2) | instid1(VALU_DEP_3)
	v_fma_f64 v[219:220], v[219:220], v[207:208], -v[170:171]
	s_waitcnt vmcnt(0) lgkmcnt(0)
	v_mul_f64 v[170:171], v[225:226], v[217:218]
	v_fma_f64 v[221:222], v[221:222], v[207:208], v[189:190]
	v_mul_f64 v[189:190], v[223:224], v[217:218]
	s_delay_alu instid0(VALU_DEP_3)
	v_fma_f64 v[207:208], v[223:224], v[215:216], -v[170:171]
	global_load_b128 v[168:171], v[168:169], off offset:496
	v_fma_f64 v[209:210], v[225:226], v[215:216], v[189:190]
	ds_load_b128 v[215:218], v255 offset:16128
	s_waitcnt vmcnt(0) lgkmcnt(0)
	v_mul_f64 v[189:190], v[217:218], v[170:171]
	v_mul_f64 v[170:171], v[215:216], v[170:171]
	s_delay_alu instid0(VALU_DEP_2) | instskip(NEXT) | instid1(VALU_DEP_2)
	v_fma_f64 v[215:216], v[215:216], v[168:169], -v[189:190]
	v_fma_f64 v[217:218], v[217:218], v[168:169], v[170:171]
	ds_store_b128 v255, v[177:180]
	ds_store_b128 v255, v[181:184] offset:1008
	ds_store_b128 v255, v[148:151] offset:2016
	;; [unrolled: 1-line block ×16, first 2 shown]
.LBB0_13:
	s_or_b32 exec_lo, exec_lo, s2
	s_waitcnt lgkmcnt(0)
	s_barrier
	buffer_gl0_inv
	s_and_saveexec_b32 s1, vcc_lo
	s_cbranch_execz .LBB0_15
; %bb.14:
	ds_load_b128 v[112:115], v255
	ds_load_b128 v[116:119], v255 offset:1008
	ds_load_b128 v[120:123], v255 offset:2016
	ds_load_b128 v[124:127], v255 offset:3024
	ds_load_b128 v[128:131], v255 offset:4032
	ds_load_b128 v[132:135], v255 offset:5040
	ds_load_b128 v[136:139], v255 offset:6048
	ds_load_b128 v[140:143], v255 offset:7056
	ds_load_b128 v[144:147], v255 offset:8064
	ds_load_b128 v[108:111], v255 offset:9072
	ds_load_b128 v[104:107], v255 offset:10080
	ds_load_b128 v[100:103], v255 offset:11088
	ds_load_b128 v[96:99], v255 offset:12096
	ds_load_b128 v[92:95], v255 offset:13104
	ds_load_b128 v[8:11], v255 offset:14112
	ds_load_b128 v[4:7], v255 offset:15120
	ds_load_b128 v[0:3], v255 offset:16128
.LBB0_15:
	s_or_b32 exec_lo, exec_lo, s1
	s_waitcnt lgkmcnt(0)
	v_add_f64 v[195:196], v[118:119], -v[2:3]
	s_mov_b32 s8, 0xeb564b22
	s_mov_b32 s9, 0xbfefdd0d
	v_add_f64 v[193:194], v[116:117], v[0:1]
	v_add_f64 v[179:180], v[122:123], -v[6:7]
	s_mov_b32 s2, 0x3259b75e
	s_mov_b32 s16, 0xacd6c6b4
	;; [unrolled: 1-line block ×4, first 2 shown]
	v_add_f64 v[177:178], v[120:121], v[4:5]
	v_add_f64 v[249:250], v[118:119], v[2:3]
	s_mov_b32 s10, 0x7faef3
	s_mov_b32 s11, 0xbfef7484
	v_add_f64 v[251:252], v[116:117], -v[0:1]
	v_add_f64 v[181:182], v[122:123], v[6:7]
	v_add_f64 v[187:188], v[120:121], -v[4:5]
	v_add_f64 v[185:186], v[126:127], -v[10:11]
	s_mov_b32 s20, 0x923c349f
	s_mov_b32 s21, 0xbfeec746
	;; [unrolled: 1-line block ×4, first 2 shown]
	v_add_f64 v[183:184], v[124:125], v[8:9]
	v_add_f64 v[189:190], v[126:127], v[10:11]
	s_mov_b32 s18, 0xc61f0d01
	s_mov_b32 s19, 0xbfd183b1
	v_add_f64 v[201:202], v[124:125], -v[8:9]
	v_add_f64 v[199:200], v[130:131], -v[94:95]
	s_mov_b32 s34, 0x5d8e7cdc
	s_mov_b32 s35, 0x3fd71e95
	v_add_f64 v[191:192], v[128:129], v[92:93]
	v_add_f64 v[205:206], v[130:131], v[94:95]
	s_mov_b32 s22, 0x370991
	s_mov_b32 s23, 0x3fedd6d0
	v_add_f64 v[211:212], v[128:129], -v[92:93]
	v_add_f64 v[209:210], v[134:135], -v[98:99]
	s_mov_b32 s44, 0x7c9e640b
	s_mov_b32 s45, 0x3feca52d
	;; [unrolled: 1-line block ×3, first 2 shown]
	v_mul_f64 v[12:13], v[195:196], s[8:9]
	s_mov_b32 s28, s44
	v_add_f64 v[207:208], v[132:133], v[96:97]
	v_add_f64 v[215:216], v[134:135], v[98:99]
	s_mov_b32 s26, 0x2b2883cd
	s_mov_b32 s27, 0x3fdc86fa
	v_add_f64 v[227:228], v[132:133], -v[96:97]
	v_add_f64 v[223:224], v[138:139], -v[102:103]
	s_mov_b32 s36, 0x4363dd80
	s_mov_b32 s37, 0xbfe0d888
	v_add_f64 v[219:220], v[136:137], v[100:101]
	v_add_f64 v[221:222], v[138:139], v[102:103]
	s_mov_b32 s30, 0x910ea3b9
	s_mov_b32 s31, 0xbfeb34fa
	v_add_f64 v[235:236], v[136:137], -v[100:101]
	v_add_f64 v[233:234], v[142:143], -v[106:107]
	s_mov_b32 s40, 0x6c9a05f6
	s_mov_b32 s41, 0xbfe9895b
	;; [unrolled: 1-line block ×4, first 2 shown]
	v_add_f64 v[225:226], v[140:141], v[104:105]
	v_add_f64 v[229:230], v[142:143], v[106:107]
	s_mov_b32 s38, 0x6ed5f1bb
	s_mov_b32 s39, 0xbfe348c8
	v_add_f64 v[245:246], v[140:141], -v[104:105]
	v_add_f64 v[243:244], v[146:147], -v[110:111]
	s_mov_b32 s46, 0x2a9d6da3
	s_mov_b32 s47, 0x3fe58eea
	v_add_f64 v[231:232], v[144:145], v[108:109]
	v_add_f64 v[237:238], v[146:147], v[110:111]
	s_mov_b32 s42, 0x75d4884
	s_mov_b32 s43, 0x3fe7a5f6
	v_add_f64 v[247:248], v[144:145], -v[108:109]
	s_mov_b32 s55, 0x3fe0d888
	s_mov_b32 s54, s36
	;; [unrolled: 1-line block ×5, first 2 shown]
	scratch_store_b64 off, v[12:13], off offset:96 ; 8-byte Folded Spill
	v_fma_f64 v[148:149], v[193:194], s[2:3], -v[12:13]
	v_mul_f64 v[12:13], v[179:180], s[16:17]
	s_mov_b32 s52, s34
	s_mov_b32 s49, 0xbfe58eea
	;; [unrolled: 1-line block ×3, first 2 shown]
	v_mul_f64 v[164:165], v[195:196], s[36:37]
	v_mul_f64 v[166:167], v[179:180], s[44:45]
	;; [unrolled: 1-line block ×4, first 2 shown]
	s_mov_b32 s57, 0x3fc7851a
	s_mov_b32 s56, s16
	v_mul_f64 v[20:21], v[233:234], s[20:21]
	v_mul_f64 v[14:15], v[229:230], s[42:43]
	;; [unrolled: 1-line block ×4, first 2 shown]
	v_add_f64 v[148:149], v[112:113], v[148:149]
	scratch_store_b64 off, v[12:13], off offset:104 ; 8-byte Folded Spill
	v_fma_f64 v[150:151], v[177:178], s[10:11], -v[12:13]
	v_mul_f64 v[12:13], v[249:250], s[2:3]
	v_fma_f64 v[172:173], v[187:188], s[28:29], v[170:171]
	v_fma_f64 v[22:23], v[225:226], s[18:19], v[20:21]
	;; [unrolled: 1-line block ×3, first 2 shown]
	v_fma_f64 v[16:17], v[231:232], s[18:19], -v[16:17]
	v_fma_f64 v[26:27], v[231:232], s[2:3], v[24:25]
	v_add_f64 v[148:149], v[150:151], v[148:149]
	scratch_store_b64 off, v[12:13], off offset:144 ; 8-byte Folded Spill
	v_fma_f64 v[150:151], v[251:252], s[8:9], v[12:13]
	v_mul_f64 v[12:13], v[181:182], s[10:11]
	s_delay_alu instid0(VALU_DEP_2) | instskip(SKIP_3) | instid1(VALU_DEP_2)
	v_add_f64 v[150:151], v[114:115], v[150:151]
	scratch_store_b64 off, v[12:13], off offset:112 ; 8-byte Folded Spill
	v_fma_f64 v[152:153], v[187:188], s[16:17], v[12:13]
	v_mul_f64 v[12:13], v[185:186], s[24:25]
	v_add_f64 v[150:151], v[152:153], v[150:151]
	scratch_store_b64 off, v[12:13], off offset:120 ; 8-byte Folded Spill
	v_fma_f64 v[152:153], v[183:184], s[18:19], -v[12:13]
	v_mul_f64 v[12:13], v[189:190], s[18:19]
	s_delay_alu instid0(VALU_DEP_2) | instskip(SKIP_3) | instid1(VALU_DEP_2)
	v_add_f64 v[148:149], v[152:153], v[148:149]
	scratch_store_b64 off, v[12:13], off offset:128 ; 8-byte Folded Spill
	v_fma_f64 v[152:153], v[201:202], s[24:25], v[12:13]
	v_mul_f64 v[12:13], v[199:200], s[34:35]
	v_add_f64 v[150:151], v[152:153], v[150:151]
	scratch_store_b64 off, v[12:13], off offset:136 ; 8-byte Folded Spill
	v_fma_f64 v[152:153], v[191:192], s[22:23], -v[12:13]
	v_mul_f64 v[12:13], v[205:206], s[22:23]
	s_delay_alu instid0(VALU_DEP_2) | instskip(SKIP_3) | instid1(VALU_DEP_2)
	v_add_f64 v[148:149], v[152:153], v[148:149]
	scratch_store_b64 off, v[12:13], off offset:152 ; 8-byte Folded Spill
	v_fma_f64 v[152:153], v[211:212], s[34:35], v[12:13]
	v_mul_f64 v[12:13], v[209:210], s[28:29]
	v_add_f64 v[150:151], v[152:153], v[150:151]
	scratch_store_b64 off, v[12:13], off offset:160 ; 8-byte Folded Spill
	v_fma_f64 v[152:153], v[207:208], s[26:27], -v[12:13]
	v_mul_f64 v[12:13], v[215:216], s[26:27]
	s_delay_alu instid0(VALU_DEP_2) | instskip(SKIP_3) | instid1(VALU_DEP_2)
	v_add_f64 v[148:149], v[152:153], v[148:149]
	scratch_store_b64 off, v[12:13], off offset:176 ; 8-byte Folded Spill
	v_fma_f64 v[152:153], v[227:228], s[28:29], v[12:13]
	v_mul_f64 v[12:13], v[223:224], s[36:37]
	v_add_f64 v[150:151], v[152:153], v[150:151]
	scratch_store_b64 off, v[12:13], off offset:168 ; 8-byte Folded Spill
	v_fma_f64 v[152:153], v[219:220], s[30:31], -v[12:13]
	v_mul_f64 v[12:13], v[221:222], s[30:31]
	s_delay_alu instid0(VALU_DEP_2) | instskip(SKIP_3) | instid1(VALU_DEP_2)
	v_add_f64 v[148:149], v[152:153], v[148:149]
	scratch_store_b64 off, v[12:13], off offset:192 ; 8-byte Folded Spill
	v_fma_f64 v[152:153], v[235:236], s[36:37], v[12:13]
	v_mul_f64 v[12:13], v[233:234], s[50:51]
	v_add_f64 v[150:151], v[152:153], v[150:151]
	scratch_store_b64 off, v[12:13], off offset:184 ; 8-byte Folded Spill
	v_fma_f64 v[152:153], v[225:226], s[38:39], -v[12:13]
	v_mul_f64 v[12:13], v[229:230], s[38:39]
	s_delay_alu instid0(VALU_DEP_2) | instskip(SKIP_3) | instid1(VALU_DEP_2)
	v_add_f64 v[148:149], v[152:153], v[148:149]
	scratch_store_b64 off, v[12:13], off offset:208 ; 8-byte Folded Spill
	v_fma_f64 v[152:153], v[245:246], s[50:51], v[12:13]
	v_mul_f64 v[12:13], v[243:244], s[46:47]
	v_add_f64 v[150:151], v[152:153], v[150:151]
	scratch_store_b64 off, v[12:13], off offset:200 ; 8-byte Folded Spill
	v_fma_f64 v[152:153], v[231:232], s[42:43], -v[12:13]
	v_mul_f64 v[12:13], v[237:238], s[42:43]
	s_delay_alu instid0(VALU_DEP_2) | instskip(SKIP_3) | instid1(VALU_DEP_2)
	v_add_f64 v[148:149], v[152:153], v[148:149]
	scratch_store_b64 off, v[12:13], off offset:216 ; 8-byte Folded Spill
	v_fma_f64 v[152:153], v[247:248], s[46:47], v[12:13]
	v_mul_f64 v[12:13], v[195:196], s[20:21]
	v_add_f64 v[150:151], v[152:153], v[150:151]
	scratch_store_b64 off, v[12:13], off offset:336 ; 8-byte Folded Spill
	v_fma_f64 v[152:153], v[193:194], s[18:19], -v[12:13]
	v_mul_f64 v[12:13], v[179:180], s[54:55]
	s_delay_alu instid0(VALU_DEP_2) | instskip(SKIP_3) | instid1(VALU_DEP_2)
	v_add_f64 v[152:153], v[112:113], v[152:153]
	scratch_store_b64 off, v[12:13], off offset:224 ; 8-byte Folded Spill
	v_fma_f64 v[154:155], v[177:178], s[30:31], -v[12:13]
	v_mul_f64 v[12:13], v[249:250], s[18:19]
	v_add_f64 v[152:153], v[154:155], v[152:153]
	scratch_store_b64 off, v[12:13], off offset:352 ; 8-byte Folded Spill
	v_fma_f64 v[154:155], v[251:252], s[20:21], v[12:13]
	v_mul_f64 v[12:13], v[181:182], s[30:31]
	s_delay_alu instid0(VALU_DEP_2) | instskip(SKIP_3) | instid1(VALU_DEP_2)
	v_add_f64 v[154:155], v[114:115], v[154:155]
	scratch_store_b64 off, v[12:13], off offset:240 ; 8-byte Folded Spill
	v_fma_f64 v[156:157], v[187:188], s[54:55], v[12:13]
	v_mul_f64 v[12:13], v[185:186], s[46:47]
	v_add_f64 v[154:155], v[156:157], v[154:155]
	scratch_store_b64 off, v[12:13], off offset:232 ; 8-byte Folded Spill
	v_fma_f64 v[156:157], v[183:184], s[42:43], -v[12:13]
	v_mul_f64 v[12:13], v[189:190], s[42:43]
	s_delay_alu instid0(VALU_DEP_2) | instskip(SKIP_3) | instid1(VALU_DEP_2)
	v_add_f64 v[152:153], v[156:157], v[152:153]
	scratch_store_b64 off, v[12:13], off offset:264 ; 8-byte Folded Spill
	v_fma_f64 v[156:157], v[201:202], s[46:47], v[12:13]
	v_mul_f64 v[12:13], v[199:200], s[28:29]
	v_add_f64 v[154:155], v[156:157], v[154:155]
	scratch_store_b64 off, v[12:13], off offset:248 ; 8-byte Folded Spill
	v_fma_f64 v[156:157], v[191:192], s[26:27], -v[12:13]
	;; [unrolled: 9-line block ×7, first 2 shown]
	v_mul_f64 v[12:13], v[179:180], s[24:25]
	s_delay_alu instid0(VALU_DEP_2) | instskip(SKIP_3) | instid1(VALU_DEP_2)
	v_add_f64 v[152:153], v[112:113], v[152:153]
	scratch_store_b64 off, v[12:13], off offset:344 ; 8-byte Folded Spill
	v_fma_f64 v[154:155], v[177:178], s[18:19], -v[12:13]
	v_mul_f64 v[12:13], v[249:250], s[38:39]
	v_add_f64 v[152:153], v[154:155], v[152:153]
	scratch_store_b64 off, v[12:13], off offset:472 ; 8-byte Folded Spill
	v_fma_f64 v[154:155], v[251:252], s[40:41], v[12:13]
	v_mul_f64 v[12:13], v[181:182], s[18:19]
	s_delay_alu instid0(VALU_DEP_2) | instskip(SKIP_3) | instid1(VALU_DEP_2)
	v_add_f64 v[154:155], v[114:115], v[154:155]
	scratch_store_b64 off, v[12:13], off offset:368 ; 8-byte Folded Spill
	v_fma_f64 v[160:161], v[187:188], s[24:25], v[12:13]
	v_mul_f64 v[12:13], v[185:186], s[52:53]
	v_add_f64 v[154:155], v[160:161], v[154:155]
	scratch_store_b64 off, v[12:13], off offset:360 ; 8-byte Folded Spill
	v_fma_f64 v[160:161], v[183:184], s[22:23], -v[12:13]
	v_mul_f64 v[12:13], v[189:190], s[22:23]
	s_delay_alu instid0(VALU_DEP_2) | instskip(SKIP_3) | instid1(VALU_DEP_2)
	v_add_f64 v[152:153], v[160:161], v[152:153]
	scratch_store_b64 off, v[12:13], off offset:400 ; 8-byte Folded Spill
	v_fma_f64 v[160:161], v[201:202], s[52:53], v[12:13]
	v_mul_f64 v[12:13], v[199:200], s[36:37]
	v_add_f64 v[154:155], v[160:161], v[154:155]
	scratch_store_b64 off, v[12:13], off offset:376 ; 8-byte Folded Spill
	v_fma_f64 v[160:161], v[191:192], s[30:31], -v[12:13]
	;; [unrolled: 9-line block ×6, first 2 shown]
	v_mul_f64 v[12:13], v[237:238], s[26:27]
	s_delay_alu instid0(VALU_DEP_2) | instskip(NEXT) | instid1(VALU_DEP_2)
	v_add_f64 v[160:161], v[160:161], v[152:153]
	v_fma_f64 v[152:153], v[247:248], s[44:45], v[12:13]
	scratch_store_b64 off, v[12:13], off offset:432 ; 8-byte Folded Spill
	s_waitcnt_vscnt null, 0x0
	s_barrier
	buffer_gl0_inv
	v_add_f64 v[162:163], v[152:153], v[154:155]
	v_fma_f64 v[152:153], v[193:194], s[30:31], v[164:165]
	v_fma_f64 v[154:155], v[177:178], s[26:27], v[166:167]
	s_delay_alu instid0(VALU_DEP_2) | instskip(NEXT) | instid1(VALU_DEP_1)
	v_add_f64 v[152:153], v[112:113], v[152:153]
	v_add_f64 v[152:153], v[154:155], v[152:153]
	v_fma_f64 v[154:155], v[251:252], s[54:55], v[168:169]
	s_delay_alu instid0(VALU_DEP_1) | instskip(NEXT) | instid1(VALU_DEP_1)
	v_add_f64 v[154:155], v[114:115], v[154:155]
	v_add_f64 v[154:155], v[172:173], v[154:155]
	v_mul_f64 v[172:173], v[185:186], s[8:9]
	s_delay_alu instid0(VALU_DEP_1) | instskip(NEXT) | instid1(VALU_DEP_1)
	v_fma_f64 v[174:175], v[183:184], s[2:3], v[172:173]
	v_add_f64 v[152:153], v[174:175], v[152:153]
	v_mul_f64 v[174:175], v[189:190], s[2:3]
	s_delay_alu instid0(VALU_DEP_1) | instskip(NEXT) | instid1(VALU_DEP_1)
	v_fma_f64 v[197:198], v[201:202], s[58:59], v[174:175]
	;; [unrolled: 4-line block ×9, first 2 shown]
	v_add_f64 v[12:13], v[12:13], v[152:153]
	v_fma_f64 v[152:153], v[245:246], s[48:49], v[14:15]
	v_fma_f64 v[14:15], v[245:246], s[46:47], v[14:15]
	s_delay_alu instid0(VALU_DEP_2) | instskip(NEXT) | instid1(VALU_DEP_4)
	v_add_f64 v[154:155], v[152:153], v[154:155]
	v_add_f64 v[152:153], v[18:19], v[12:13]
	v_mul_f64 v[12:13], v[237:238], s[18:19]
	s_delay_alu instid0(VALU_DEP_1) | instskip(SKIP_1) | instid1(VALU_DEP_2)
	v_fma_f64 v[18:19], v[247:248], s[24:25], v[12:13]
	v_fma_f64 v[12:13], v[247:248], s[20:21], v[12:13]
	v_add_f64 v[154:155], v[18:19], v[154:155]
	v_fma_f64 v[18:19], v[193:194], s[30:31], -v[164:165]
	v_fma_f64 v[164:165], v[177:178], s[26:27], -v[166:167]
	v_fma_f64 v[166:167], v[187:188], s[44:45], v[170:171]
	s_delay_alu instid0(VALU_DEP_3) | instskip(NEXT) | instid1(VALU_DEP_1)
	v_add_f64 v[18:19], v[112:113], v[18:19]
	v_add_f64 v[18:19], v[164:165], v[18:19]
	v_fma_f64 v[164:165], v[251:252], s[36:37], v[168:169]
	s_delay_alu instid0(VALU_DEP_1) | instskip(NEXT) | instid1(VALU_DEP_1)
	v_add_f64 v[164:165], v[114:115], v[164:165]
	v_add_f64 v[164:165], v[166:167], v[164:165]
	v_fma_f64 v[166:167], v[183:184], s[2:3], -v[172:173]
	v_mul_f64 v[172:173], v[181:182], s[22:23]
	s_delay_alu instid0(VALU_DEP_2) | instskip(SKIP_1) | instid1(VALU_DEP_3)
	v_add_f64 v[18:19], v[166:167], v[18:19]
	v_fma_f64 v[166:167], v[201:202], s[8:9], v[174:175]
	v_fma_f64 v[170:171], v[187:188], s[52:53], v[172:173]
	v_mul_f64 v[174:175], v[185:186], s[36:37]
	s_delay_alu instid0(VALU_DEP_3) | instskip(SKIP_2) | instid1(VALU_DEP_2)
	v_add_f64 v[164:165], v[166:167], v[164:165]
	v_fma_f64 v[166:167], v[191:192], s[38:39], -v[197:198]
	v_mul_f64 v[197:198], v[189:190], s[30:31]
	v_add_f64 v[18:19], v[166:167], v[18:19]
	v_fma_f64 v[166:167], v[211:212], s[50:51], v[253:254]
	v_mul_f64 v[253:254], v[221:222], s[26:27]
	s_delay_alu instid0(VALU_DEP_2) | instskip(SKIP_2) | instid1(VALU_DEP_2)
	v_add_f64 v[164:165], v[166:167], v[164:165]
	v_fma_f64 v[166:167], v[207:208], s[22:23], -v[203:204]
	v_mul_f64 v[203:204], v[199:200], s[46:47]
	v_add_f64 v[18:19], v[166:167], v[18:19]
	v_fma_f64 v[166:167], v[227:228], s[52:53], v[213:214]
	v_mul_f64 v[213:214], v[205:206], s[42:43]
	s_delay_alu instid0(VALU_DEP_2) | instskip(SKIP_2) | instid1(VALU_DEP_2)
	v_add_f64 v[164:165], v[166:167], v[164:165]
	v_fma_f64 v[166:167], v[219:220], s[10:11], -v[217:218]
	v_mul_f64 v[217:218], v[209:210], s[40:41]
	v_add_f64 v[18:19], v[166:167], v[18:19]
	v_fma_f64 v[166:167], v[235:236], s[16:17], v[239:240]
	v_mul_f64 v[239:240], v[215:216], s[38:39]
	s_delay_alu instid0(VALU_DEP_2) | instskip(SKIP_2) | instid1(VALU_DEP_3)
	v_add_f64 v[164:165], v[166:167], v[164:165]
	v_fma_f64 v[166:167], v[225:226], s[42:43], -v[241:242]
	v_mul_f64 v[241:242], v[223:224], s[44:45]
	v_add_f64 v[14:15], v[14:15], v[164:165]
	s_delay_alu instid0(VALU_DEP_3) | instskip(NEXT) | instid1(VALU_DEP_2)
	v_add_f64 v[18:19], v[166:167], v[18:19]
	v_add_f64 v[166:167], v[12:13], v[14:15]
	v_mul_f64 v[12:13], v[195:196], s[16:17]
	s_delay_alu instid0(VALU_DEP_3) | instskip(SKIP_1) | instid1(VALU_DEP_3)
	v_add_f64 v[164:165], v[16:17], v[18:19]
	v_mul_f64 v[16:17], v[179:180], s[34:35]
	v_fma_f64 v[14:15], v[193:194], s[10:11], v[12:13]
	v_fma_f64 v[12:13], v[193:194], s[10:11], -v[12:13]
	s_delay_alu instid0(VALU_DEP_3) | instskip(SKIP_1) | instid1(VALU_DEP_4)
	v_fma_f64 v[18:19], v[177:178], s[22:23], v[16:17]
	v_fma_f64 v[16:17], v[177:178], s[22:23], -v[16:17]
	v_add_f64 v[14:15], v[112:113], v[14:15]
	s_delay_alu instid0(VALU_DEP_4) | instskip(NEXT) | instid1(VALU_DEP_2)
	v_add_f64 v[12:13], v[112:113], v[12:13]
	v_add_f64 v[14:15], v[18:19], v[14:15]
	v_mul_f64 v[18:19], v[249:250], s[10:11]
	s_delay_alu instid0(VALU_DEP_3) | instskip(NEXT) | instid1(VALU_DEP_2)
	v_add_f64 v[12:13], v[16:17], v[12:13]
	v_fma_f64 v[168:169], v[251:252], s[56:57], v[18:19]
	v_fma_f64 v[16:17], v[251:252], s[16:17], v[18:19]
	;; [unrolled: 1-line block ×3, first 2 shown]
	s_delay_alu instid0(VALU_DEP_3) | instskip(NEXT) | instid1(VALU_DEP_3)
	v_add_f64 v[168:169], v[114:115], v[168:169]
	v_add_f64 v[16:17], v[114:115], v[16:17]
	s_delay_alu instid0(VALU_DEP_2) | instskip(SKIP_1) | instid1(VALU_DEP_3)
	v_add_f64 v[168:169], v[170:171], v[168:169]
	v_fma_f64 v[170:171], v[183:184], s[30:31], v[174:175]
	v_add_f64 v[16:17], v[18:19], v[16:17]
	v_fma_f64 v[18:19], v[183:184], s[30:31], -v[174:175]
	s_delay_alu instid0(VALU_DEP_3) | instskip(SKIP_1) | instid1(VALU_DEP_3)
	v_add_f64 v[14:15], v[170:171], v[14:15]
	v_fma_f64 v[170:171], v[201:202], s[54:55], v[197:198]
	v_add_f64 v[12:13], v[18:19], v[12:13]
	v_fma_f64 v[18:19], v[201:202], s[36:37], v[197:198]
	s_delay_alu instid0(VALU_DEP_3) | instskip(SKIP_1) | instid1(VALU_DEP_3)
	v_add_f64 v[168:169], v[170:171], v[168:169]
	v_fma_f64 v[170:171], v[191:192], s[42:43], v[203:204]
	v_add_f64 v[16:17], v[18:19], v[16:17]
	v_fma_f64 v[18:19], v[191:192], s[42:43], -v[203:204]
	s_delay_alu instid0(VALU_DEP_3) | instskip(SKIP_1) | instid1(VALU_DEP_3)
	v_add_f64 v[14:15], v[170:171], v[14:15]
	v_fma_f64 v[170:171], v[211:212], s[48:49], v[213:214]
	v_add_f64 v[12:13], v[18:19], v[12:13]
	v_fma_f64 v[18:19], v[211:212], s[46:47], v[213:214]
	s_delay_alu instid0(VALU_DEP_3) | instskip(SKIP_1) | instid1(VALU_DEP_3)
	;; [unrolled: 10-line block ×3, first 2 shown]
	v_add_f64 v[168:169], v[170:171], v[168:169]
	v_fma_f64 v[170:171], v[219:220], s[26:27], v[241:242]
	v_add_f64 v[16:17], v[18:19], v[16:17]
	v_fma_f64 v[18:19], v[219:220], s[26:27], -v[241:242]
	s_delay_alu instid0(VALU_DEP_3) | instskip(SKIP_1) | instid1(VALU_DEP_3)
	v_add_f64 v[14:15], v[170:171], v[14:15]
	v_fma_f64 v[170:171], v[235:236], s[28:29], v[253:254]
	v_add_f64 v[12:13], v[18:19], v[12:13]
	v_fma_f64 v[18:19], v[235:236], s[44:45], v[253:254]
	s_delay_alu instid0(VALU_DEP_4) | instskip(SKIP_2) | instid1(VALU_DEP_4)
	v_add_f64 v[14:15], v[22:23], v[14:15]
	v_mul_f64 v[22:23], v[229:230], s[18:19]
	v_add_f64 v[168:169], v[170:171], v[168:169]
	v_add_f64 v[16:17], v[18:19], v[16:17]
	v_fma_f64 v[18:19], v[225:226], s[18:19], -v[20:21]
	s_delay_alu instid0(VALU_DEP_4) | instskip(NEXT) | instid1(VALU_DEP_2)
	v_fma_f64 v[170:171], v[245:246], s[24:25], v[22:23]
	v_add_f64 v[12:13], v[18:19], v[12:13]
	v_fma_f64 v[18:19], v[245:246], s[20:21], v[22:23]
	s_delay_alu instid0(VALU_DEP_3) | instskip(SKIP_2) | instid1(VALU_DEP_4)
	v_add_f64 v[170:171], v[170:171], v[168:169]
	v_add_f64 v[168:169], v[26:27], v[14:15]
	v_mul_f64 v[14:15], v[237:238], s[2:3]
	v_add_f64 v[16:17], v[18:19], v[16:17]
	v_fma_f64 v[18:19], v[231:232], s[2:3], -v[24:25]
	s_delay_alu instid0(VALU_DEP_3) | instskip(SKIP_1) | instid1(VALU_DEP_3)
	v_fma_f64 v[26:27], v[247:248], s[8:9], v[14:15]
	v_fma_f64 v[14:15], v[247:248], s[58:59], v[14:15]
	v_add_f64 v[172:173], v[18:19], v[12:13]
	s_delay_alu instid0(VALU_DEP_3) | instskip(NEXT) | instid1(VALU_DEP_3)
	v_add_f64 v[170:171], v[26:27], v[170:171]
	v_add_f64 v[174:175], v[14:15], v[16:17]
	s_and_saveexec_b32 s1, vcc_lo
	s_cbranch_execz .LBB0_17
; %bb.16:
	v_add_f64 v[12:13], v[114:115], v[118:119]
	v_add_f64 v[14:15], v[112:113], v[116:117]
	v_mul_f64 v[18:19], v[251:252], s[48:49]
	v_mul_f64 v[20:21], v[251:252], s[52:53]
	;; [unrolled: 1-line block ×6, first 2 shown]
	s_clause 0x1
	scratch_load_b64 v[16:17], off, off offset:96
	scratch_load_b64 v[118:119], off, off offset:360
	v_add_f64 v[12:13], v[12:13], v[122:123]
	v_add_f64 v[14:15], v[14:15], v[120:121]
	scratch_load_b64 v[120:121], off, off offset:344 ; 8-byte Folded Reload
	v_fma_f64 v[24:25], v[249:250], s[42:43], v[18:19]
	v_fma_f64 v[18:19], v[249:250], s[42:43], -v[18:19]
	v_fma_f64 v[26:27], v[249:250], s[22:23], v[20:21]
	v_fma_f64 v[20:21], v[249:250], s[22:23], -v[20:21]
	scratch_load_b64 v[122:123], off, off offset:448 ; 8-byte Folded Reload
	v_add_f64 v[12:13], v[12:13], v[126:127]
	v_add_f64 v[14:15], v[14:15], v[124:125]
	v_mul_f64 v[124:125], v[209:210], s[54:55]
	v_add_f64 v[24:25], v[114:115], v[24:25]
	v_add_f64 v[18:19], v[114:115], v[18:19]
	;; [unrolled: 1-line block ×4, first 2 shown]
	v_mul_f64 v[126:127], v[235:236], s[24:25]
	v_add_f64 v[12:13], v[12:13], v[130:131]
	v_add_f64 v[14:15], v[14:15], v[128:129]
	v_mul_f64 v[128:129], v[223:224], s[24:25]
	v_mul_f64 v[130:131], v[245:246], s[44:45]
	s_delay_alu instid0(VALU_DEP_4) | instskip(NEXT) | instid1(VALU_DEP_4)
	v_add_f64 v[12:13], v[12:13], v[134:135]
	v_add_f64 v[14:15], v[14:15], v[132:133]
	v_mul_f64 v[132:133], v[233:234], s[44:45]
	v_mul_f64 v[134:135], v[247:248], s[34:35]
	s_delay_alu instid0(VALU_DEP_4) | instskip(NEXT) | instid1(VALU_DEP_4)
	v_add_f64 v[12:13], v[12:13], v[138:139]
	v_add_f64 v[14:15], v[14:15], v[136:137]
	v_mul_f64 v[136:137], v[187:188], s[40:41]
	v_mul_f64 v[138:139], v[179:180], s[40:41]
	s_delay_alu instid0(VALU_DEP_4) | instskip(NEXT) | instid1(VALU_DEP_4)
	v_add_f64 v[12:13], v[12:13], v[142:143]
	v_add_f64 v[14:15], v[14:15], v[140:141]
	v_mul_f64 v[140:141], v[185:186], s[56:57]
	v_mul_f64 v[142:143], v[211:212], s[24:25]
	s_delay_alu instid0(VALU_DEP_4) | instskip(NEXT) | instid1(VALU_DEP_4)
	v_add_f64 v[12:13], v[12:13], v[146:147]
	v_add_f64 v[14:15], v[14:15], v[144:145]
	v_mul_f64 v[144:145], v[199:200], s[24:25]
	v_mul_f64 v[146:147], v[227:228], s[46:47]
	s_delay_alu instid0(VALU_DEP_4) | instskip(NEXT) | instid1(VALU_DEP_4)
	v_add_f64 v[12:13], v[12:13], v[110:111]
	v_add_f64 v[14:15], v[14:15], v[108:109]
	scratch_load_b64 v[110:111], off, off offset:416 ; 8-byte Folded Reload
	v_add_f64 v[12:13], v[12:13], v[106:107]
	v_add_f64 v[14:15], v[14:15], v[104:105]
	s_delay_alu instid0(VALU_DEP_2) | instskip(NEXT) | instid1(VALU_DEP_2)
	v_add_f64 v[12:13], v[12:13], v[102:103]
	v_add_f64 v[14:15], v[14:15], v[100:101]
	s_delay_alu instid0(VALU_DEP_2) | instskip(NEXT) | instid1(VALU_DEP_2)
	v_add_f64 v[12:13], v[12:13], v[98:99]
	v_add_f64 v[14:15], v[14:15], v[96:97]
	v_mul_f64 v[96:97], v[195:196], s[52:53]
	s_delay_alu instid0(VALU_DEP_3) | instskip(NEXT) | instid1(VALU_DEP_3)
	v_add_f64 v[12:13], v[12:13], v[94:95]
	v_add_f64 v[14:15], v[14:15], v[92:93]
	v_mul_f64 v[94:95], v[195:196], s[48:49]
	s_delay_alu instid0(VALU_DEP_4)
	v_fma_f64 v[102:103], v[193:194], s[22:23], -v[96:97]
	v_mul_f64 v[92:93], v[195:196], s[28:29]
	v_fma_f64 v[96:97], v[193:194], s[22:23], v[96:97]
	v_mul_f64 v[195:196], v[235:236], s[52:53]
	v_add_f64 v[10:11], v[12:13], v[10:11]
	v_add_f64 v[8:9], v[14:15], v[8:9]
	s_clause 0x1
	scratch_load_b64 v[12:13], off, off offset:336
	scratch_load_b64 v[14:15], off, off offset:144
	v_fma_f64 v[100:101], v[193:194], s[42:43], -v[94:95]
	v_add_f64 v[116:117], v[112:113], v[102:103]
	scratch_load_b64 v[102:103], off, off offset:368 ; 8-byte Folded Reload
	v_fma_f64 v[98:99], v[193:194], s[26:27], -v[92:93]
	v_fma_f64 v[94:95], v[193:194], s[42:43], v[94:95]
	v_fma_f64 v[92:93], v[193:194], s[26:27], v[92:93]
	v_add_f64 v[6:7], v[10:11], v[6:7]
	v_add_f64 v[4:5], v[8:9], v[4:5]
	s_clause 0x1
	scratch_load_b64 v[8:9], off, off offset:464
	scratch_load_b64 v[10:11], off, off offset:352
	v_add_f64 v[108:109], v[112:113], v[100:101]
	scratch_load_b64 v[100:101], off, off offset:400 ; 8-byte Folded Reload
	v_add_f64 v[104:105], v[112:113], v[98:99]
	v_add_f64 v[98:99], v[112:113], v[94:95]
	scratch_load_b64 v[94:95], off, off offset:456 ; 8-byte Folded Reload
	v_add_f64 v[106:107], v[112:113], v[92:93]
	v_mul_f64 v[92:93], v[227:228], s[58:59]
	v_add_f64 v[2:3], v[6:7], v[2:3]
	scratch_load_b64 v[6:7], off, off offset:472 ; 8-byte Folded Reload
	v_add_f64 v[0:1], v[4:5], v[0:1]
	v_mul_f64 v[4:5], v[251:252], s[40:41]
	s_waitcnt vmcnt(0)
	s_delay_alu instid0(VALU_DEP_1) | instskip(SKIP_1) | instid1(VALU_DEP_2)
	v_add_f64 v[4:5], v[6:7], -v[4:5]
	v_mul_f64 v[6:7], v[193:194], s[38:39]
	v_add_f64 v[4:5], v[114:115], v[4:5]
	s_delay_alu instid0(VALU_DEP_2) | instskip(SKIP_1) | instid1(VALU_DEP_2)
	v_add_f64 v[6:7], v[6:7], v[8:9]
	v_mul_f64 v[8:9], v[251:252], s[20:21]
	v_add_f64 v[6:7], v[112:113], v[6:7]
	s_delay_alu instid0(VALU_DEP_2) | instskip(SKIP_1) | instid1(VALU_DEP_2)
	v_add_f64 v[8:9], v[10:11], -v[8:9]
	v_mul_f64 v[10:11], v[193:194], s[18:19]
	v_add_f64 v[8:9], v[114:115], v[8:9]
	s_delay_alu instid0(VALU_DEP_2) | instskip(SKIP_1) | instid1(VALU_DEP_2)
	v_add_f64 v[10:11], v[10:11], v[12:13]
	v_mul_f64 v[12:13], v[251:252], s[8:9]
	v_add_f64 v[10:11], v[112:113], v[10:11]
	s_delay_alu instid0(VALU_DEP_2) | instskip(SKIP_2) | instid1(VALU_DEP_3)
	v_add_f64 v[12:13], v[14:15], -v[12:13]
	v_mul_f64 v[14:15], v[193:194], s[2:3]
	v_mul_f64 v[193:194], v[209:210], s[46:47]
	v_add_f64 v[12:13], v[114:115], v[12:13]
	s_delay_alu instid0(VALU_DEP_3) | instskip(SKIP_1) | instid1(VALU_DEP_2)
	v_add_f64 v[14:15], v[14:15], v[16:17]
	v_mul_f64 v[16:17], v[251:252], s[28:29]
	v_add_f64 v[14:15], v[112:113], v[14:15]
	v_add_f64 v[112:113], v[112:113], v[96:97]
	scratch_load_b64 v[96:97], off, off offset:440 ; 8-byte Folded Reload
	v_fma_f64 v[22:23], v[249:250], s[26:27], v[16:17]
	v_fma_f64 v[16:17], v[249:250], s[26:27], -v[16:17]
	v_add_f64 v[92:93], v[94:95], -v[92:93]
	v_mul_f64 v[94:95], v[211:212], s[36:37]
	s_delay_alu instid0(VALU_DEP_4) | instskip(NEXT) | instid1(VALU_DEP_4)
	v_add_f64 v[22:23], v[114:115], v[22:23]
	v_add_f64 v[16:17], v[114:115], v[16:17]
	scratch_load_b64 v[114:115], off, off offset:376 ; 8-byte Folded Reload
	s_waitcnt vmcnt(1)
	v_add_f64 v[94:95], v[96:97], -v[94:95]
	v_mul_f64 v[96:97], v[201:202], s[52:53]
	s_delay_alu instid0(VALU_DEP_1) | instskip(SKIP_1) | instid1(VALU_DEP_1)
	v_add_f64 v[96:97], v[100:101], -v[96:97]
	v_mul_f64 v[100:101], v[187:188], s[24:25]
	v_add_f64 v[100:101], v[102:103], -v[100:101]
	v_mul_f64 v[102:103], v[207:208], s[2:3]
	s_delay_alu instid0(VALU_DEP_2) | instskip(NEXT) | instid1(VALU_DEP_2)
	v_add_f64 v[4:5], v[100:101], v[4:5]
	v_add_f64 v[102:103], v[102:103], v[110:111]
	v_mul_f64 v[110:111], v[191:192], s[30:31]
	v_mul_f64 v[100:101], v[219:220], s[42:43]
	s_delay_alu instid0(VALU_DEP_4) | instskip(SKIP_2) | instid1(VALU_DEP_4)
	v_add_f64 v[4:5], v[96:97], v[4:5]
	v_mul_f64 v[96:97], v[245:246], s[16:17]
	s_waitcnt vmcnt(0)
	v_add_f64 v[110:111], v[110:111], v[114:115]
	v_mul_f64 v[114:115], v[183:184], s[22:23]
	s_delay_alu instid0(VALU_DEP_4) | instskip(SKIP_1) | instid1(VALU_DEP_3)
	v_add_f64 v[4:5], v[94:95], v[4:5]
	v_mul_f64 v[94:95], v[225:226], s[10:11]
	v_add_f64 v[114:115], v[114:115], v[118:119]
	v_mul_f64 v[118:119], v[177:178], s[18:19]
	s_delay_alu instid0(VALU_DEP_4) | instskip(SKIP_1) | instid1(VALU_DEP_3)
	v_add_f64 v[4:5], v[92:93], v[4:5]
	v_mul_f64 v[92:93], v[247:248], s[44:45]
	v_add_f64 v[118:119], v[118:119], v[120:121]
	v_mul_f64 v[120:121], v[235:236], s[48:49]
	s_delay_alu instid0(VALU_DEP_2)
	v_add_f64 v[6:7], v[118:119], v[6:7]
	scratch_load_b64 v[118:119], off, off offset:408 ; 8-byte Folded Reload
	v_add_f64 v[6:7], v[114:115], v[6:7]
	scratch_load_b64 v[114:115], off, off offset:424 ; 8-byte Folded Reload
	;; [unrolled: 2-line block ×4, first 2 shown]
	v_add_f64 v[120:121], v[122:123], -v[120:121]
	scratch_load_b64 v[122:123], off, off offset:304 ; 8-byte Folded Reload
	v_add_f64 v[4:5], v[120:121], v[4:5]
	scratch_load_b64 v[120:121], off, off offset:224 ; 8-byte Folded Reload
	s_waitcnt vmcnt(5)
	v_add_f64 v[100:101], v[100:101], v[118:119]
	s_waitcnt vmcnt(4)
	v_add_f64 v[96:97], v[114:115], -v[96:97]
	s_delay_alu instid0(VALU_DEP_2)
	v_add_f64 v[6:7], v[100:101], v[6:7]
	v_mul_f64 v[100:101], v[231:232], s[26:27]
	s_clause 0x1
	scratch_load_b64 v[114:115], off, off offset:248
	scratch_load_b64 v[118:119], off, off offset:232
	v_add_f64 v[4:5], v[96:97], v[4:5]
	scratch_load_b64 v[96:97], off, off offset:296 ; 8-byte Folded Reload
	s_waitcnt vmcnt(5)
	v_add_f64 v[92:93], v[102:103], -v[92:93]
	scratch_load_b64 v[102:103], off, off offset:384 ; 8-byte Folded Reload
	v_add_f64 v[94:95], v[94:95], v[110:111]
	scratch_load_b64 v[110:111], off, off offset:288 ; 8-byte Folded Reload
	v_add_f64 v[94:95], v[94:95], v[6:7]
	v_add_f64 v[6:7], v[92:93], v[4:5]
	v_mul_f64 v[92:93], v[227:228], s[16:17]
	s_waitcnt vmcnt(1)
	v_add_f64 v[100:101], v[100:101], v[102:103]
	scratch_load_b64 v[102:103], off, off offset:240 ; 8-byte Folded Reload
	v_add_f64 v[4:5], v[100:101], v[94:95]
	s_clause 0x1
	scratch_load_b64 v[94:95], off, off offset:328
	scratch_load_b64 v[100:101], off, off offset:264
	s_waitcnt vmcnt(1)
	v_add_f64 v[92:93], v[94:95], -v[92:93]
	v_mul_f64 v[94:95], v[211:212], s[28:29]
	s_delay_alu instid0(VALU_DEP_1) | instskip(SKIP_2) | instid1(VALU_DEP_1)
	v_add_f64 v[94:95], v[96:97], -v[94:95]
	v_mul_f64 v[96:97], v[201:202], s[46:47]
	s_waitcnt vmcnt(0)
	v_add_f64 v[96:97], v[100:101], -v[96:97]
	v_mul_f64 v[100:101], v[187:188], s[54:55]
	s_delay_alu instid0(VALU_DEP_1) | instskip(SKIP_1) | instid1(VALU_DEP_2)
	v_add_f64 v[100:101], v[102:103], -v[100:101]
	v_mul_f64 v[102:103], v[207:208], s[10:11]
	v_add_f64 v[8:9], v[100:101], v[8:9]
	s_delay_alu instid0(VALU_DEP_2) | instskip(SKIP_2) | instid1(VALU_DEP_4)
	v_add_f64 v[102:103], v[102:103], v[110:111]
	v_mul_f64 v[110:111], v[191:192], s[26:27]
	v_mul_f64 v[100:101], v[219:220], s[2:3]
	v_add_f64 v[8:9], v[96:97], v[8:9]
	v_mul_f64 v[96:97], v[245:246], s[52:53]
	s_delay_alu instid0(VALU_DEP_4) | instskip(SKIP_1) | instid1(VALU_DEP_4)
	v_add_f64 v[110:111], v[110:111], v[114:115]
	v_mul_f64 v[114:115], v[183:184], s[42:43]
	v_add_f64 v[8:9], v[94:95], v[8:9]
	v_mul_f64 v[94:95], v[225:226], s[22:23]
	s_delay_alu instid0(VALU_DEP_3) | instskip(SKIP_1) | instid1(VALU_DEP_4)
	v_add_f64 v[114:115], v[114:115], v[118:119]
	v_mul_f64 v[118:119], v[177:178], s[30:31]
	v_add_f64 v[8:9], v[92:93], v[8:9]
	v_mul_f64 v[92:93], v[247:248], s[40:41]
	s_delay_alu instid0(VALU_DEP_3) | instskip(SKIP_1) | instid1(VALU_DEP_2)
	v_add_f64 v[118:119], v[118:119], v[120:121]
	v_mul_f64 v[120:121], v[235:236], s[58:59]
	v_add_f64 v[10:11], v[118:119], v[10:11]
	scratch_load_b64 v[118:119], off, off offset:272 ; 8-byte Folded Reload
	v_add_f64 v[10:11], v[114:115], v[10:11]
	scratch_load_b64 v[114:115], off, off offset:312 ; 8-byte Folded Reload
	;; [unrolled: 2-line block ×3, first 2 shown]
	v_add_f64 v[120:121], v[122:123], -v[120:121]
	scratch_load_b64 v[122:123], off, off offset:192 ; 8-byte Folded Reload
	v_add_f64 v[10:11], v[102:103], v[10:11]
	scratch_load_b64 v[102:103], off, off offset:320 ; 8-byte Folded Reload
	v_add_f64 v[8:9], v[120:121], v[8:9]
	s_waitcnt vmcnt(3)
	v_add_f64 v[96:97], v[114:115], -v[96:97]
	s_waitcnt vmcnt(2)
	v_add_f64 v[94:95], v[94:95], v[110:111]
	s_delay_alu instid0(VALU_DEP_2)
	v_add_f64 v[8:9], v[96:97], v[8:9]
	s_clause 0x2
	scratch_load_b64 v[96:97], off, off offset:152
	scratch_load_b64 v[110:111], off, off offset:160
	;; [unrolled: 1-line block ×3, first 2 shown]
	s_waitcnt vmcnt(3)
	v_add_f64 v[92:93], v[102:103], -v[92:93]
	scratch_load_b64 v[102:103], off, off offset:256 ; 8-byte Folded Reload
	v_add_f64 v[100:101], v[100:101], v[118:119]
	s_clause 0x1
	scratch_load_b64 v[118:119], off, off offset:120
	scratch_load_b64 v[120:121], off, off offset:104
	v_add_f64 v[10:11], v[100:101], v[10:11]
	v_mul_f64 v[100:101], v[231:232], s[38:39]
	s_delay_alu instid0(VALU_DEP_2) | instskip(SKIP_3) | instid1(VALU_DEP_4)
	v_add_f64 v[94:95], v[94:95], v[10:11]
	v_add_f64 v[10:11], v[92:93], v[8:9]
	v_mul_f64 v[92:93], v[227:228], s[28:29]
	s_waitcnt vmcnt(2)
	v_add_f64 v[100:101], v[100:101], v[102:103]
	scratch_load_b64 v[102:103], off, off offset:112 ; 8-byte Folded Reload
	v_add_f64 v[8:9], v[100:101], v[94:95]
	s_clause 0x1
	scratch_load_b64 v[94:95], off, off offset:176
	scratch_load_b64 v[100:101], off, off offset:128
	s_waitcnt vmcnt(1)
	v_add_f64 v[92:93], v[94:95], -v[92:93]
	v_mul_f64 v[94:95], v[211:212], s[34:35]
	s_delay_alu instid0(VALU_DEP_1) | instskip(SKIP_2) | instid1(VALU_DEP_1)
	v_add_f64 v[94:95], v[96:97], -v[94:95]
	v_mul_f64 v[96:97], v[201:202], s[24:25]
	s_waitcnt vmcnt(0)
	v_add_f64 v[96:97], v[100:101], -v[96:97]
	v_mul_f64 v[100:101], v[187:188], s[16:17]
	s_delay_alu instid0(VALU_DEP_1) | instskip(SKIP_1) | instid1(VALU_DEP_2)
	v_add_f64 v[100:101], v[102:103], -v[100:101]
	v_mul_f64 v[102:103], v[207:208], s[26:27]
	v_add_f64 v[12:13], v[100:101], v[12:13]
	s_delay_alu instid0(VALU_DEP_2) | instskip(SKIP_2) | instid1(VALU_DEP_4)
	v_add_f64 v[102:103], v[102:103], v[110:111]
	v_mul_f64 v[110:111], v[191:192], s[22:23]
	v_mul_f64 v[100:101], v[219:220], s[30:31]
	v_add_f64 v[12:13], v[96:97], v[12:13]
	v_mul_f64 v[96:97], v[245:246], s[50:51]
	s_delay_alu instid0(VALU_DEP_4) | instskip(SKIP_1) | instid1(VALU_DEP_4)
	v_add_f64 v[110:111], v[110:111], v[114:115]
	v_mul_f64 v[114:115], v[183:184], s[18:19]
	v_add_f64 v[12:13], v[94:95], v[12:13]
	v_mul_f64 v[94:95], v[225:226], s[38:39]
	s_delay_alu instid0(VALU_DEP_3) | instskip(SKIP_1) | instid1(VALU_DEP_4)
	v_add_f64 v[114:115], v[114:115], v[118:119]
	v_mul_f64 v[118:119], v[177:178], s[10:11]
	v_add_f64 v[12:13], v[92:93], v[12:13]
	v_mul_f64 v[92:93], v[247:248], s[46:47]
	s_delay_alu instid0(VALU_DEP_3) | instskip(SKIP_1) | instid1(VALU_DEP_2)
	v_add_f64 v[118:119], v[118:119], v[120:121]
	v_mul_f64 v[120:121], v[235:236], s[36:37]
	v_add_f64 v[14:15], v[118:119], v[14:15]
	scratch_load_b64 v[118:119], off, off offset:168 ; 8-byte Folded Reload
	v_add_f64 v[14:15], v[114:115], v[14:15]
	scratch_load_b64 v[114:115], off, off offset:208 ; 8-byte Folded Reload
	v_add_f64 v[14:15], v[110:111], v[14:15]
	s_delay_alu instid0(VALU_DEP_1)
	v_add_f64 v[14:15], v[102:103], v[14:15]
	scratch_load_b64 v[102:103], off, off offset:216 ; 8-byte Folded Reload
	s_waitcnt vmcnt(1)
	v_add_f64 v[96:97], v[114:115], -v[96:97]
	v_mul_f64 v[114:115], v[185:186], s[40:41]
	s_waitcnt vmcnt(0)
	v_add_f64 v[92:93], v[102:103], -v[92:93]
	s_clause 0x1
	scratch_load_b64 v[102:103], off, off offset:200
	scratch_load_b64 v[110:111], off, off offset:184
	v_add_f64 v[120:121], v[122:123], -v[120:121]
	v_add_f64 v[100:101], v[100:101], v[118:119]
	v_mul_f64 v[118:119], v[211:212], s[16:17]
	v_mul_f64 v[122:123], v[227:228], s[54:55]
	s_delay_alu instid0(VALU_DEP_4) | instskip(NEXT) | instid1(VALU_DEP_4)
	v_add_f64 v[12:13], v[120:121], v[12:13]
	v_add_f64 v[14:15], v[100:101], v[14:15]
	v_mul_f64 v[100:101], v[231:232], s[42:43]
	v_mul_f64 v[120:121], v[199:200], s[16:17]
	s_delay_alu instid0(VALU_DEP_4) | instskip(SKIP_1) | instid1(VALU_DEP_3)
	v_add_f64 v[12:13], v[96:97], v[12:13]
	s_waitcnt vmcnt(1)
	v_add_f64 v[100:101], v[100:101], v[102:103]
	s_waitcnt vmcnt(0)
	v_add_f64 v[94:95], v[94:95], v[110:111]
	v_mul_f64 v[110:111], v[201:202], s[40:41]
	s_delay_alu instid0(VALU_DEP_2) | instskip(SKIP_2) | instid1(VALU_DEP_3)
	v_add_f64 v[14:15], v[94:95], v[14:15]
	v_add_f64 v[94:95], v[92:93], v[12:13]
	v_mul_f64 v[12:13], v[187:188], s[8:9]
	v_add_f64 v[92:93], v[100:101], v[14:15]
	s_delay_alu instid0(VALU_DEP_2) | instskip(SKIP_1) | instid1(VALU_DEP_2)
	v_fma_f64 v[14:15], v[181:182], s[2:3], -v[12:13]
	v_fma_f64 v[12:13], v[181:182], s[2:3], v[12:13]
	v_add_f64 v[14:15], v[14:15], v[18:19]
	v_mul_f64 v[18:19], v[179:180], s[8:9]
	s_delay_alu instid0(VALU_DEP_3) | instskip(NEXT) | instid1(VALU_DEP_2)
	v_add_f64 v[12:13], v[12:13], v[24:25]
	v_fma_f64 v[96:97], v[177:178], s[2:3], v[18:19]
	s_delay_alu instid0(VALU_DEP_1) | instskip(SKIP_1) | instid1(VALU_DEP_1)
	v_add_f64 v[96:97], v[96:97], v[98:99]
	v_fma_f64 v[98:99], v[189:190], s[38:39], -v[110:111]
	v_add_f64 v[14:15], v[98:99], v[14:15]
	v_fma_f64 v[98:99], v[183:184], s[38:39], v[114:115]
	s_delay_alu instid0(VALU_DEP_1) | instskip(SKIP_1) | instid1(VALU_DEP_1)
	v_add_f64 v[96:97], v[98:99], v[96:97]
	v_fma_f64 v[98:99], v[205:206], s[10:11], -v[118:119]
	;; [unrolled: 5-line block ×6, first 2 shown]
	v_add_f64 v[98:99], v[98:99], v[14:15]
	v_mul_f64 v[14:15], v[243:244], s[34:35]
	s_delay_alu instid0(VALU_DEP_1) | instskip(SKIP_1) | instid1(VALU_DEP_2)
	v_fma_f64 v[100:101], v[231:232], s[22:23], v[14:15]
	v_fma_f64 v[14:15], v[231:232], s[22:23], -v[14:15]
	v_add_f64 v[96:97], v[100:101], v[96:97]
	v_fma_f64 v[100:101], v[181:182], s[38:39], -v[136:137]
	v_fma_f64 v[136:137], v[181:182], s[38:39], v[136:137]
	s_delay_alu instid0(VALU_DEP_2) | instskip(SKIP_1) | instid1(VALU_DEP_3)
	v_add_f64 v[16:17], v[100:101], v[16:17]
	v_fma_f64 v[100:101], v[177:178], s[38:39], v[138:139]
	v_add_f64 v[22:23], v[136:137], v[22:23]
	v_fma_f64 v[136:137], v[177:178], s[38:39], -v[138:139]
	s_delay_alu instid0(VALU_DEP_3) | instskip(SKIP_1) | instid1(VALU_DEP_3)
	v_add_f64 v[100:101], v[100:101], v[106:107]
	v_mul_f64 v[106:107], v[201:202], s[56:57]
	v_add_f64 v[104:105], v[136:137], v[104:105]
	s_delay_alu instid0(VALU_DEP_2) | instskip(SKIP_1) | instid1(VALU_DEP_2)
	v_fma_f64 v[102:103], v[189:190], s[10:11], -v[106:107]
	v_fma_f64 v[106:107], v[189:190], s[10:11], v[106:107]
	v_add_f64 v[16:17], v[102:103], v[16:17]
	v_fma_f64 v[102:103], v[183:184], s[10:11], v[140:141]
	s_delay_alu instid0(VALU_DEP_3) | instskip(SKIP_1) | instid1(VALU_DEP_3)
	v_add_f64 v[22:23], v[106:107], v[22:23]
	v_fma_f64 v[106:107], v[183:184], s[10:11], -v[140:141]
	v_add_f64 v[100:101], v[102:103], v[100:101]
	v_fma_f64 v[102:103], v[205:206], s[18:19], -v[142:143]
	s_delay_alu instid0(VALU_DEP_3) | instskip(SKIP_1) | instid1(VALU_DEP_3)
	v_add_f64 v[104:105], v[106:107], v[104:105]
	v_fma_f64 v[106:107], v[205:206], s[18:19], v[142:143]
	v_add_f64 v[16:17], v[102:103], v[16:17]
	v_fma_f64 v[102:103], v[191:192], s[18:19], v[144:145]
	s_delay_alu instid0(VALU_DEP_3) | instskip(SKIP_1) | instid1(VALU_DEP_3)
	v_add_f64 v[22:23], v[106:107], v[22:23]
	v_fma_f64 v[106:107], v[191:192], s[18:19], -v[144:145]
	v_add_f64 v[100:101], v[102:103], v[100:101]
	v_fma_f64 v[102:103], v[215:216], s[42:43], -v[146:147]
	s_delay_alu instid0(VALU_DEP_3) | instskip(SKIP_1) | instid1(VALU_DEP_3)
	v_add_f64 v[104:105], v[106:107], v[104:105]
	;; [unrolled: 10-line block ×5, first 2 shown]
	v_fma_f64 v[106:107], v[237:238], s[30:31], v[217:218]
	v_add_f64 v[102:103], v[102:103], v[16:17]
	v_mul_f64 v[16:17], v[243:244], s[36:37]
	s_delay_alu instid0(VALU_DEP_3) | instskip(NEXT) | instid1(VALU_DEP_2)
	v_add_f64 v[106:107], v[106:107], v[22:23]
	v_fma_f64 v[239:240], v[231:232], s[30:31], v[16:17]
	v_fma_f64 v[16:17], v[231:232], s[30:31], -v[16:17]
	s_delay_alu instid0(VALU_DEP_2) | instskip(NEXT) | instid1(VALU_DEP_2)
	v_add_f64 v[100:101], v[239:240], v[100:101]
	v_add_f64 v[104:105], v[16:17], v[104:105]
	v_fma_f64 v[16:17], v[177:178], s[2:3], -v[18:19]
	v_fma_f64 v[18:19], v[189:190], s[38:39], v[110:111]
	s_delay_alu instid0(VALU_DEP_2) | instskip(NEXT) | instid1(VALU_DEP_2)
	v_add_f64 v[16:17], v[16:17], v[108:109]
	v_add_f64 v[12:13], v[18:19], v[12:13]
	v_fma_f64 v[18:19], v[183:184], s[38:39], -v[114:115]
	s_delay_alu instid0(VALU_DEP_1) | instskip(SKIP_2) | instid1(VALU_DEP_2)
	v_add_f64 v[16:17], v[18:19], v[16:17]
	v_fma_f64 v[18:19], v[205:206], s[10:11], v[118:119]
	v_mul_f64 v[118:119], v[199:200], s[8:9]
	v_add_f64 v[12:13], v[18:19], v[12:13]
	v_fma_f64 v[18:19], v[191:192], s[10:11], -v[120:121]
	v_mul_f64 v[120:121], v[227:228], s[20:21]
	s_delay_alu instid0(VALU_DEP_2) | instskip(SKIP_2) | instid1(VALU_DEP_2)
	v_add_f64 v[16:17], v[18:19], v[16:17]
	v_fma_f64 v[18:19], v[215:216], s[30:31], v[122:123]
	v_mul_f64 v[122:123], v[209:210], s[20:21]
	v_add_f64 v[12:13], v[18:19], v[12:13]
	v_fma_f64 v[18:19], v[207:208], s[30:31], -v[124:125]
	v_mul_f64 v[124:125], v[235:236], s[40:41]
	s_delay_alu instid0(VALU_DEP_2) | instskip(SKIP_2) | instid1(VALU_DEP_2)
	;; [unrolled: 7-line block ×3, first 2 shown]
	v_add_f64 v[16:17], v[18:19], v[16:17]
	v_fma_f64 v[18:19], v[229:230], s[26:27], v[130:131]
	v_mul_f64 v[130:131], v[233:234], s[36:37]
	v_add_f64 v[12:13], v[18:19], v[12:13]
	v_fma_f64 v[18:19], v[225:226], s[26:27], -v[132:133]
	v_mul_f64 v[132:133], v[247:248], s[16:17]
	s_delay_alu instid0(VALU_DEP_2) | instskip(SKIP_2) | instid1(VALU_DEP_3)
	v_add_f64 v[16:17], v[18:19], v[16:17]
	v_fma_f64 v[18:19], v[237:238], s[22:23], v[134:135]
	v_mul_f64 v[134:135], v[243:244], s[16:17]
	v_add_f64 v[108:109], v[14:15], v[16:17]
	s_delay_alu instid0(VALU_DEP_3) | instskip(SKIP_2) | instid1(VALU_DEP_2)
	v_add_f64 v[110:111], v[18:19], v[12:13]
	v_mul_f64 v[12:13], v[187:188], s[48:49]
	v_mul_f64 v[16:17], v[179:180], s[48:49]
	v_fma_f64 v[14:15], v[181:182], s[42:43], -v[12:13]
	s_delay_alu instid0(VALU_DEP_2) | instskip(SKIP_1) | instid1(VALU_DEP_3)
	v_fma_f64 v[18:19], v[177:178], s[42:43], v[16:17]
	v_fma_f64 v[12:13], v[181:182], s[42:43], v[12:13]
	v_add_f64 v[14:15], v[14:15], v[20:21]
	v_mul_f64 v[20:21], v[201:202], s[28:29]
	s_delay_alu instid0(VALU_DEP_4) | instskip(NEXT) | instid1(VALU_DEP_4)
	v_add_f64 v[18:19], v[18:19], v[112:113]
	v_add_f64 v[12:13], v[12:13], v[26:27]
	s_delay_alu instid0(VALU_DEP_3) | instskip(NEXT) | instid1(VALU_DEP_1)
	v_fma_f64 v[22:23], v[189:190], s[26:27], -v[20:21]
	v_add_f64 v[14:15], v[22:23], v[14:15]
	v_mul_f64 v[22:23], v[185:186], s[28:29]
	s_delay_alu instid0(VALU_DEP_1) | instskip(NEXT) | instid1(VALU_DEP_1)
	v_fma_f64 v[24:25], v[183:184], s[26:27], v[22:23]
	v_add_f64 v[18:19], v[24:25], v[18:19]
	v_mul_f64 v[24:25], v[211:212], s[8:9]
	s_delay_alu instid0(VALU_DEP_1) | instskip(NEXT) | instid1(VALU_DEP_1)
	v_fma_f64 v[112:113], v[205:206], s[2:3], -v[24:25]
	v_add_f64 v[14:15], v[112:113], v[14:15]
	v_fma_f64 v[112:113], v[191:192], s[2:3], v[118:119]
	s_delay_alu instid0(VALU_DEP_1) | instskip(SKIP_1) | instid1(VALU_DEP_1)
	v_add_f64 v[18:19], v[112:113], v[18:19]
	v_fma_f64 v[112:113], v[215:216], s[18:19], -v[120:121]
	v_add_f64 v[14:15], v[112:113], v[14:15]
	v_fma_f64 v[112:113], v[207:208], s[18:19], v[122:123]
	s_delay_alu instid0(VALU_DEP_1) | instskip(SKIP_1) | instid1(VALU_DEP_1)
	v_add_f64 v[18:19], v[112:113], v[18:19]
	;; [unrolled: 5-line block ×4, first 2 shown]
	v_fma_f64 v[112:113], v[237:238], s[10:11], -v[132:133]
	v_add_f64 v[114:115], v[112:113], v[14:15]
	v_fma_f64 v[14:15], v[231:232], s[10:11], v[134:135]
	s_delay_alu instid0(VALU_DEP_1)
	v_add_f64 v[112:113], v[14:15], v[18:19]
	v_fma_f64 v[14:15], v[177:178], s[42:43], -v[16:17]
	v_fma_f64 v[16:17], v[189:190], s[26:27], v[20:21]
	v_fma_f64 v[20:21], v[205:206], s[2:3], v[24:25]
	v_fma_f64 v[18:19], v[183:184], s[26:27], -v[22:23]
	v_fma_f64 v[22:23], v[191:192], s[2:3], -v[118:119]
	v_add_f64 v[14:15], v[14:15], v[116:117]
	v_add_f64 v[12:13], v[16:17], v[12:13]
	v_fma_f64 v[16:17], v[215:216], s[18:19], v[120:121]
	s_delay_alu instid0(VALU_DEP_3) | instskip(NEXT) | instid1(VALU_DEP_3)
	v_add_f64 v[14:15], v[18:19], v[14:15]
	v_add_f64 v[12:13], v[20:21], v[12:13]
	v_fma_f64 v[20:21], v[221:222], s[38:39], v[124:125]
	v_fma_f64 v[18:19], v[207:208], s[18:19], -v[122:123]
	s_delay_alu instid0(VALU_DEP_4) | instskip(NEXT) | instid1(VALU_DEP_4)
	v_add_f64 v[14:15], v[22:23], v[14:15]
	v_add_f64 v[12:13], v[16:17], v[12:13]
	v_fma_f64 v[16:17], v[229:230], s[30:31], v[128:129]
	v_fma_f64 v[22:23], v[219:220], s[38:39], -v[126:127]
	s_delay_alu instid0(VALU_DEP_4) | instskip(NEXT) | instid1(VALU_DEP_4)
	;; [unrolled: 5-line block ×3, first 2 shown]
	v_add_f64 v[14:15], v[22:23], v[14:15]
	v_add_f64 v[12:13], v[16:17], v[12:13]
	v_fma_f64 v[22:23], v[231:232], s[10:11], -v[134:135]
	s_delay_alu instid0(VALU_DEP_3) | instskip(NEXT) | instid1(VALU_DEP_3)
	v_add_f64 v[14:15], v[18:19], v[14:15]
	v_add_f64 v[118:119], v[20:21], v[12:13]
	scratch_load_b32 v12, off, off offset:12 ; 4-byte Folded Reload
	v_add_f64 v[116:117], v[22:23], v[14:15]
	s_waitcnt vmcnt(0)
	v_and_b32_e32 v12, 0xffff, v12
	s_delay_alu instid0(VALU_DEP_1)
	v_lshlrev_b32_e32 v12, 4, v12
	ds_store_b128 v12, v[96:99] offset:32
	ds_store_b128 v12, v[100:103] offset:48
	;; [unrolled: 1-line block ×15, first 2 shown]
	ds_store_b128 v12, v[0:3]
	ds_store_b128 v12, v[116:119] offset:256
.LBB0_17:
	s_or_b32 exec_lo, exec_lo, s1
	s_waitcnt lgkmcnt(0)
	s_barrier
	buffer_gl0_inv
	ds_load_b128 v[0:3], v255
	ds_load_b128 v[100:103], v255 offset:2448
	ds_load_b128 v[96:99], v255 offset:4896
	;; [unrolled: 1-line block ×6, first 2 shown]
	s_and_saveexec_b32 s1, s0
	s_cbranch_execz .LBB0_19
; %bb.18:
	ds_load_b128 v[152:155], v255 offset:1904
	ds_load_b128 v[168:171], v255 offset:4352
	;; [unrolled: 1-line block ×7, first 2 shown]
.LBB0_19:
	s_or_b32 exec_lo, exec_lo, s1
	s_waitcnt lgkmcnt(5)
	v_mul_f64 v[12:13], v[50:51], v[102:103]
	v_mul_f64 v[14:15], v[50:51], v[100:101]
	s_waitcnt lgkmcnt(4)
	v_mul_f64 v[16:17], v[42:43], v[98:99]
	v_mul_f64 v[18:19], v[42:43], v[96:97]
	;; [unrolled: 3-line block ×3, first 2 shown]
	v_mul_f64 v[24:25], v[38:39], v[94:95]
	v_mul_f64 v[26:27], v[38:39], v[92:93]
	;; [unrolled: 1-line block ×6, first 2 shown]
	s_mov_b32 s8, 0x37e14327
	s_mov_b32 s16, 0xe976ee23
	;; [unrolled: 1-line block ×20, first 2 shown]
	s_barrier
	buffer_gl0_inv
	v_fma_f64 v[12:13], v[48:49], v[100:101], v[12:13]
	v_fma_f64 v[14:15], v[48:49], v[102:103], -v[14:15]
	v_fma_f64 v[16:17], v[40:41], v[96:97], v[16:17]
	v_fma_f64 v[18:19], v[40:41], v[98:99], -v[18:19]
	;; [unrolled: 2-line block ×6, first 2 shown]
	v_add_f64 v[36:37], v[12:13], v[20:21]
	v_add_f64 v[38:39], v[14:15], v[22:23]
	;; [unrolled: 1-line block ×4, first 2 shown]
	v_add_f64 v[16:17], v[16:17], -v[24:25]
	v_add_f64 v[18:19], v[18:19], -v[26:27]
	v_add_f64 v[24:25], v[8:9], v[4:5]
	v_add_f64 v[26:27], v[10:11], v[6:7]
	v_add_f64 v[4:5], v[4:5], -v[8:9]
	v_add_f64 v[6:7], v[6:7], -v[10:11]
	;; [unrolled: 1-line block ×4, first 2 shown]
	v_add_f64 v[12:13], v[40:41], v[36:37]
	v_add_f64 v[14:15], v[42:43], v[38:39]
	v_add_f64 v[20:21], v[36:37], -v[24:25]
	v_add_f64 v[22:23], v[38:39], -v[26:27]
	;; [unrolled: 1-line block ×6, first 2 shown]
	v_add_f64 v[16:17], v[4:5], v[16:17]
	v_add_f64 v[18:19], v[6:7], v[18:19]
	v_add_f64 v[4:5], v[8:9], -v[4:5]
	v_add_f64 v[6:7], v[10:11], -v[6:7]
	;; [unrolled: 1-line block ×4, first 2 shown]
	v_add_f64 v[12:13], v[24:25], v[12:13]
	v_add_f64 v[14:15], v[26:27], v[14:15]
	v_add_f64 v[24:25], v[24:25], -v[40:41]
	v_add_f64 v[26:27], v[26:27], -v[42:43]
	v_mul_f64 v[20:21], v[20:21], s[8:9]
	v_mul_f64 v[22:23], v[22:23], s[8:9]
	;; [unrolled: 1-line block ×6, first 2 shown]
	v_add_f64 v[8:9], v[16:17], v[8:9]
	v_add_f64 v[10:11], v[18:19], v[10:11]
	;; [unrolled: 1-line block ×4, first 2 shown]
	v_mul_f64 v[40:41], v[24:25], s[20:21]
	v_mul_f64 v[42:43], v[26:27], s[20:21]
	v_fma_f64 v[16:17], v[24:25], s[20:21], v[20:21]
	v_fma_f64 v[18:19], v[26:27], s[20:21], v[22:23]
	;; [unrolled: 1-line block ×4, first 2 shown]
	v_fma_f64 v[44:45], v[48:49], s[2:3], -v[44:45]
	v_fma_f64 v[46:47], v[50:51], s[2:3], -v[46:47]
	;; [unrolled: 1-line block ×6, first 2 shown]
	v_fma_f64 v[12:13], v[12:13], s[10:11], v[0:1]
	v_fma_f64 v[14:15], v[14:15], s[10:11], v[2:3]
	v_fma_f64 v[36:37], v[36:37], s[18:19], -v[40:41]
	v_fma_f64 v[38:39], v[38:39], s[18:19], -v[42:43]
	v_fma_f64 v[24:25], v[8:9], s[28:29], v[24:25]
	v_fma_f64 v[26:27], v[10:11], s[28:29], v[26:27]
	;; [unrolled: 1-line block ×6, first 2 shown]
	v_add_f64 v[16:17], v[16:17], v[12:13]
	v_add_f64 v[18:19], v[18:19], v[14:15]
	;; [unrolled: 1-line block ×7, first 2 shown]
	v_add_f64 v[6:7], v[18:19], -v[24:25]
	v_add_f64 v[8:9], v[44:45], v[20:21]
	v_add_f64 v[10:11], v[22:23], -v[46:47]
	v_add_f64 v[36:37], v[12:13], -v[40:41]
	v_add_f64 v[38:39], v[42:43], v[14:15]
	v_add_f64 v[40:41], v[40:41], v[12:13]
	v_add_f64 v[42:43], v[14:15], -v[42:43]
	v_add_f64 v[44:45], v[20:21], -v[44:45]
	v_add_f64 v[46:47], v[46:47], v[22:23]
	v_add_f64 v[48:49], v[16:17], -v[26:27]
	v_add_f64 v[50:51], v[24:25], v[18:19]
	ds_store_b128 v176, v[0:3]
	ds_store_b128 v176, v[4:7] offset:272
	ds_store_b128 v176, v[8:11] offset:544
	;; [unrolled: 1-line block ×6, first 2 shown]
	s_and_saveexec_b32 s1, s0
	s_cbranch_execz .LBB0_21
; %bb.20:
	s_clause 0x2
	scratch_load_b128 v[40:43], off, off offset:64
	scratch_load_b128 v[36:39], off, off offset:48
	;; [unrolled: 1-line block ×3, first 2 shown]
	v_mul_f64 v[4:5], v[34:35], v[156:157]
	v_mul_f64 v[14:15], v[34:35], v[158:159]
	v_mul_f64 v[18:19], v[30:31], v[166:167]
	v_mul_f64 v[20:21], v[30:31], v[164:165]
	s_delay_alu instid0(VALU_DEP_4) | instskip(NEXT) | instid1(VALU_DEP_4)
	v_fma_f64 v[4:5], v[32:33], v[158:159], -v[4:5]
	v_fma_f64 v[14:15], v[32:33], v[156:157], v[14:15]
	s_delay_alu instid0(VALU_DEP_4) | instskip(NEXT) | instid1(VALU_DEP_4)
	v_fma_f64 v[18:19], v[28:29], v[164:165], v[18:19]
	v_fma_f64 v[20:21], v[28:29], v[166:167], -v[20:21]
	s_waitcnt vmcnt(2)
	v_mul_f64 v[0:1], v[42:43], v[148:149]
	v_mul_f64 v[10:11], v[42:43], v[150:151]
	scratch_load_b128 v[42:45], off, off offset:80 ; 16-byte Folded Reload
	s_waitcnt vmcnt(2)
	v_mul_f64 v[2:3], v[38:39], v[168:169]
	s_waitcnt vmcnt(1)
	v_mul_f64 v[6:7], v[26:27], v[172:173]
	v_mul_f64 v[8:9], v[38:39], v[170:171]
	;; [unrolled: 1-line block ×3, first 2 shown]
	v_fma_f64 v[0:1], v[40:41], v[150:151], -v[0:1]
	v_fma_f64 v[10:11], v[40:41], v[148:149], v[10:11]
	v_fma_f64 v[2:3], v[36:37], v[170:171], -v[2:3]
	v_fma_f64 v[6:7], v[24:25], v[174:175], -v[6:7]
	v_fma_f64 v[8:9], v[36:37], v[168:169], v[8:9]
	v_fma_f64 v[12:13], v[24:25], v[172:173], v[12:13]
	s_delay_alu instid0(VALU_DEP_4) | instskip(NEXT) | instid1(VALU_DEP_4)
	v_add_f64 v[24:25], v[2:3], v[0:1]
	v_add_f64 v[26:27], v[6:7], v[4:5]
	s_delay_alu instid0(VALU_DEP_4) | instskip(NEXT) | instid1(VALU_DEP_4)
	v_add_f64 v[28:29], v[8:9], v[10:11]
	v_add_f64 v[30:31], v[12:13], v[14:15]
	v_add_f64 v[12:13], v[12:13], -v[14:15]
	v_add_f64 v[8:9], v[8:9], -v[10:11]
	v_add_f64 v[4:5], v[6:7], -v[4:5]
	v_add_f64 v[6:7], v[2:3], -v[0:1]
	v_add_f64 v[10:11], v[26:27], v[24:25]
	v_add_f64 v[0:1], v[30:31], v[28:29]
	v_add_f64 v[34:35], v[12:13], -v[8:9]
	s_delay_alu instid0(VALU_DEP_4) | instskip(NEXT) | instid1(VALU_DEP_1)
	v_add_f64 v[38:39], v[4:5], -v[6:7]
	v_mul_f64 v[46:47], v[38:39], s[2:3]
	s_waitcnt vmcnt(0)
	v_mul_f64 v[16:17], v[44:45], v[162:163]
	v_mul_f64 v[22:23], v[44:45], v[160:161]
	;; [unrolled: 1-line block ×3, first 2 shown]
	s_delay_alu instid0(VALU_DEP_3) | instskip(NEXT) | instid1(VALU_DEP_3)
	v_fma_f64 v[16:17], v[42:43], v[160:161], v[16:17]
	v_fma_f64 v[22:23], v[42:43], v[162:163], -v[22:23]
	s_delay_alu instid0(VALU_DEP_2) | instskip(NEXT) | instid1(VALU_DEP_2)
	v_add_f64 v[32:33], v[16:17], -v[18:19]
	v_add_f64 v[14:15], v[20:21], v[22:23]
	v_add_f64 v[16:17], v[18:19], v[16:17]
	v_add_f64 v[18:19], v[22:23], -v[20:21]
	s_delay_alu instid0(VALU_DEP_4) | instskip(NEXT) | instid1(VALU_DEP_4)
	v_add_f64 v[2:3], v[32:33], -v[12:13]
	v_add_f64 v[20:21], v[24:25], -v[14:15]
	s_delay_alu instid0(VALU_DEP_4)
	v_add_f64 v[22:23], v[28:29], -v[16:17]
	v_add_f64 v[10:11], v[14:15], v[10:11]
	v_add_f64 v[14:15], v[14:15], -v[26:27]
	v_add_f64 v[36:37], v[18:19], -v[4:5]
	v_add_f64 v[40:41], v[16:17], v[0:1]
	v_add_f64 v[16:17], v[16:17], -v[30:31]
	v_add_f64 v[42:43], v[8:9], -v[32:33]
	v_add_f64 v[12:13], v[32:33], v[12:13]
	v_add_f64 v[4:5], v[18:19], v[4:5]
	v_add_f64 v[18:19], v[6:7], -v[18:19]
	v_add_f64 v[24:25], v[26:27], -v[24:25]
	v_add_f64 v[28:29], v[30:31], -v[28:29]
	v_mul_f64 v[32:33], v[2:3], s[16:17]
	v_mul_f64 v[20:21], v[20:21], s[8:9]
	;; [unrolled: 1-line block ×3, first 2 shown]
	v_add_f64 v[2:3], v[154:155], v[10:11]
	v_mul_f64 v[26:27], v[14:15], s[20:21]
	v_mul_f64 v[36:37], v[36:37], s[16:17]
	v_add_f64 v[0:1], v[152:153], v[40:41]
	v_mul_f64 v[30:31], v[16:17], s[20:21]
	v_add_f64 v[8:9], v[12:13], v[8:9]
	v_add_f64 v[4:5], v[4:5], v[6:7]
	v_fma_f64 v[6:7], v[42:43], s[24:25], v[32:33]
	v_fma_f64 v[12:13], v[14:15], s[20:21], v[20:21]
	;; [unrolled: 1-line block ×3, first 2 shown]
	v_fma_f64 v[16:17], v[42:43], s[26:27], -v[44:45]
	v_fma_f64 v[32:33], v[34:35], s[2:3], -v[32:33]
	v_fma_f64 v[10:11], v[10:11], s[10:11], v[2:3]
	v_fma_f64 v[20:21], v[24:25], s[22:23], -v[20:21]
	v_fma_f64 v[24:25], v[24:25], s[18:19], -v[26:27]
	v_fma_f64 v[26:27], v[18:19], s[24:25], v[36:37]
	;; [unrolled: 3-line block ×4, first 2 shown]
	v_fma_f64 v[16:17], v[8:9], s[28:29], v[16:17]
	v_fma_f64 v[8:9], v[8:9], s[28:29], v[32:33]
	v_add_f64 v[12:13], v[12:13], v[10:11]
	v_add_f64 v[20:21], v[20:21], v[10:11]
	;; [unrolled: 1-line block ×3, first 2 shown]
	v_fma_f64 v[32:33], v[4:5], s[28:29], v[26:27]
	v_fma_f64 v[38:39], v[4:5], s[28:29], v[18:19]
	;; [unrolled: 1-line block ×3, first 2 shown]
	v_add_f64 v[34:35], v[14:15], v[36:37]
	v_add_f64 v[40:41], v[22:23], v[36:37]
	;; [unrolled: 1-line block ×5, first 2 shown]
	v_add_f64 v[22:23], v[20:21], -v[16:17]
	v_add_f64 v[26:27], v[12:13], -v[30:31]
	;; [unrolled: 1-line block ×3, first 2 shown]
	v_add_f64 v[18:19], v[8:9], v[24:25]
	v_add_f64 v[24:25], v[32:33], v[34:35]
	;; [unrolled: 1-line block ×3, first 2 shown]
	v_add_f64 v[16:17], v[28:29], -v[4:5]
	v_add_f64 v[12:13], v[4:5], v[28:29]
	s_clause 0x1
	scratch_load_b32 v28, off, off offset:24
	scratch_load_b32 v29, off, off offset:16
	v_add_f64 v[8:9], v[40:41], -v[38:39]
	v_add_f64 v[4:5], v[34:35], -v[32:33]
	s_waitcnt vmcnt(1)
	v_mul_u32_u24_e32 v28, 0x77, v28
	s_waitcnt vmcnt(0)
	s_delay_alu instid0(VALU_DEP_1)
	v_add_lshl_u32 v28, v28, v29, 4
	ds_store_b128 v28, v[0:3]
	ds_store_b128 v28, v[24:27] offset:272
	ds_store_b128 v28, v[20:23] offset:544
	;; [unrolled: 1-line block ×6, first 2 shown]
.LBB0_21:
	s_or_b32 exec_lo, exec_lo, s1
	s_waitcnt lgkmcnt(0)
	s_barrier
	buffer_gl0_inv
	ds_load_b128 v[0:3], v255 offset:1904
	ds_load_b128 v[4:7], v255 offset:15232
	;; [unrolled: 1-line block ×7, first 2 shown]
	s_mov_b32 s0, 0x8c811c17
	s_mov_b32 s8, 0xa2cf5039
	;; [unrolled: 1-line block ×8, first 2 shown]
	s_waitcnt lgkmcnt(6)
	v_mul_f64 v[28:29], v[70:71], v[2:3]
	v_mul_f64 v[30:31], v[70:71], v[0:1]
	s_waitcnt lgkmcnt(5)
	v_mul_f64 v[32:33], v[82:83], v[6:7]
	v_mul_f64 v[34:35], v[82:83], v[4:5]
	;; [unrolled: 3-line block ×3, first 2 shown]
	s_waitcnt lgkmcnt(3)
	v_mul_f64 v[40:41], v[74:75], v[14:15]
	s_waitcnt lgkmcnt(2)
	v_mul_f64 v[42:43], v[90:91], v[18:19]
	v_mul_f64 v[44:45], v[74:75], v[12:13]
	;; [unrolled: 1-line block ×3, first 2 shown]
	s_waitcnt lgkmcnt(1)
	v_mul_f64 v[48:49], v[86:87], v[22:23]
	v_mul_f64 v[50:51], v[86:87], v[20:21]
	v_fma_f64 v[28:29], v[68:69], v[0:1], v[28:29]
	v_fma_f64 v[30:31], v[68:69], v[2:3], -v[30:31]
	v_fma_f64 v[4:5], v[80:81], v[4:5], v[32:33]
	v_fma_f64 v[6:7], v[80:81], v[6:7], -v[34:35]
	v_fma_f64 v[8:9], v[76:77], v[8:9], v[36:37]
	v_fma_f64 v[10:11], v[76:77], v[10:11], -v[38:39]
	v_fma_f64 v[12:13], v[72:73], v[12:13], v[40:41]
	v_fma_f64 v[16:17], v[88:89], v[16:17], v[42:43]
	v_fma_f64 v[14:15], v[72:73], v[14:15], -v[44:45]
	v_fma_f64 v[18:19], v[88:89], v[18:19], -v[46:47]
	v_fma_f64 v[20:21], v[84:85], v[20:21], v[48:49]
	v_fma_f64 v[22:23], v[84:85], v[22:23], -v[50:51]
	ds_load_b128 v[0:3], v255 offset:11424
	s_waitcnt lgkmcnt(1)
	v_mul_f64 v[32:33], v[66:67], v[26:27]
	v_mul_f64 v[34:35], v[66:67], v[24:25]
	v_add_f64 v[40:41], v[28:29], -v[4:5]
	v_add_f64 v[42:43], v[30:31], -v[6:7]
	v_add_f64 v[28:29], v[28:29], v[4:5]
	v_add_f64 v[30:31], v[30:31], v[6:7]
	ds_load_b128 v[4:7], v255
	s_waitcnt lgkmcnt(1)
	v_mul_f64 v[36:37], v[62:63], v[2:3]
	v_mul_f64 v[38:39], v[62:63], v[0:1]
	v_add_f64 v[44:45], v[12:13], v[16:17]
	v_add_f64 v[46:47], v[12:13], -v[16:17]
	v_add_f64 v[48:49], v[14:15], -v[18:19]
	v_add_f64 v[50:51], v[8:9], v[20:21]
	v_add_f64 v[52:53], v[10:11], v[22:23]
	v_add_f64 v[54:55], v[14:15], v[18:19]
	v_fma_f64 v[24:25], v[64:65], v[24:25], v[32:33]
	v_fma_f64 v[26:27], v[64:65], v[26:27], -v[34:35]
	v_add_f64 v[8:9], v[8:9], -v[20:21]
	v_add_f64 v[10:11], v[10:11], -v[22:23]
	v_mul_f64 v[20:21], v[40:41], s[2:3]
	v_mul_f64 v[22:23], v[42:43], s[2:3]
	s_waitcnt lgkmcnt(0)
	v_fma_f64 v[32:33], v[28:29], s[8:9], v[4:5]
	v_fma_f64 v[34:35], v[30:31], s[8:9], v[6:7]
	s_mov_b32 s3, 0xbfe491b7
	v_fma_f64 v[0:1], v[60:61], v[0:1], v[36:37]
	v_fma_f64 v[2:3], v[60:61], v[2:3], -v[38:39]
	v_fma_f64 v[36:37], v[44:45], s[8:9], v[4:5]
	v_mul_f64 v[38:39], v[46:47], s[0:1]
	v_mul_f64 v[56:57], v[48:49], s[0:1]
	v_fma_f64 v[58:59], v[50:51], s[8:9], v[4:5]
	v_fma_f64 v[60:61], v[52:53], s[8:9], v[6:7]
	;; [unrolled: 1-line block ×3, first 2 shown]
	v_mul_f64 v[64:65], v[48:49], s[2:3]
	v_mul_f64 v[66:67], v[46:47], s[2:3]
	v_add_f64 v[72:73], v[50:51], v[28:29]
	v_add_f64 v[74:75], v[52:53], v[30:31]
	s_mov_b32 s8, 0x7e0b738b
	s_mov_b32 s9, 0x3fc63a1a
	v_fma_f64 v[20:21], v[8:9], s[0:1], v[20:21]
	v_fma_f64 v[22:23], v[10:11], s[0:1], v[22:23]
	v_add_f64 v[68:69], v[24:25], v[0:1]
	v_add_f64 v[70:71], v[26:27], v[2:3]
	v_add_f64 v[0:1], v[24:25], -v[0:1]
	v_add_f64 v[2:3], v[26:27], -v[2:3]
	v_fma_f64 v[24:25], v[50:51], s[8:9], v[32:33]
	v_fma_f64 v[26:27], v[52:53], s[8:9], v[34:35]
	;; [unrolled: 1-line block ×3, first 2 shown]
	v_fma_f64 v[34:35], v[8:9], s[2:3], -v[38:39]
	v_fma_f64 v[36:37], v[10:11], s[2:3], -v[56:57]
	v_fma_f64 v[38:39], v[44:45], s[8:9], v[58:59]
	v_fma_f64 v[56:57], v[54:55], s[8:9], v[60:61]
	;; [unrolled: 1-line block ×5, first 2 shown]
	v_add_f64 v[80:81], v[44:45], v[72:73]
	v_add_f64 v[82:83], v[54:55], v[74:75]
	s_mov_b32 s0, 0xe8584cab
	s_mov_b32 s1, 0x3febb67a
	;; [unrolled: 1-line block ×4, first 2 shown]
	v_add_f64 v[64:65], v[46:47], v[40:41]
	v_add_f64 v[66:67], v[48:49], v[42:43]
	s_mov_b32 s8, 0x748a0bf8
	s_mov_b32 s9, 0x3fd5e3a8
	v_add_f64 v[72:73], v[68:69], v[72:73]
	v_add_f64 v[74:75], v[70:71], v[74:75]
	v_fma_f64 v[20:21], v[0:1], s[0:1], v[20:21]
	v_fma_f64 v[22:23], v[2:3], s[0:1], v[22:23]
	v_fma_f64 v[24:25], v[68:69], -0.5, v[24:25]
	v_fma_f64 v[26:27], v[70:71], -0.5, v[26:27]
	;; [unrolled: 1-line block ×3, first 2 shown]
	v_fma_f64 v[34:35], v[0:1], s[0:1], v[34:35]
	v_fma_f64 v[36:37], v[2:3], s[0:1], v[36:37]
	v_fma_f64 v[38:39], v[68:69], -0.5, v[38:39]
	v_fma_f64 v[56:57], v[70:71], -0.5, v[56:57]
	v_add_f64 v[76:77], v[4:5], v[68:69]
	v_add_f64 v[78:79], v[6:7], v[70:71]
	v_fma_f64 v[58:59], v[70:71], -0.5, v[58:59]
	v_fma_f64 v[2:3], v[2:3], s[2:3], v[60:61]
	v_fma_f64 v[0:1], v[0:1], s[2:3], v[62:63]
	v_add_f64 v[60:61], v[64:65], -v[8:9]
	v_add_f64 v[62:63], v[66:67], -v[10:11]
	v_add_f64 v[12:13], v[12:13], v[72:73]
	v_add_f64 v[14:15], v[14:15], v[74:75]
	v_fma_f64 v[46:47], v[46:47], s[8:9], v[20:21]
	v_fma_f64 v[48:49], v[48:49], s[8:9], v[22:23]
	;; [unrolled: 1-line block ×9, first 2 shown]
	v_fma_f64 v[64:65], v[80:81], -0.5, v[76:77]
	v_fma_f64 v[66:67], v[82:83], -0.5, v[78:79]
	v_fma_f64 v[34:35], v[52:53], s[10:11], v[58:59]
	v_fma_f64 v[36:37], v[10:11], s[8:9], v[2:3]
	;; [unrolled: 1-line block ×3, first 2 shown]
	v_mul_f64 v[40:41], v[60:61], s[0:1]
	v_mul_f64 v[42:43], v[62:63], s[0:1]
	v_add_f64 v[44:45], v[16:17], v[12:13]
	v_add_f64 v[50:51], v[18:19], v[14:15]
	v_add_f64 v[8:9], v[20:21], -v[48:49]
	v_add_f64 v[10:11], v[46:47], v[22:23]
	v_add_f64 v[12:13], v[28:29], -v[32:33]
	v_add_f64 v[14:15], v[26:27], v[30:31]
	v_fma_f64 v[0:1], v[62:63], s[2:3], v[64:65]
	v_fma_f64 v[2:3], v[60:61], s[0:1], v[66:67]
	v_add_f64 v[16:17], v[24:25], -v[36:37]
	v_add_f64 v[18:19], v[38:39], v[34:35]
	v_add_f64 v[4:5], v[4:5], v[44:45]
	;; [unrolled: 1-line block ×3, first 2 shown]
	v_fma_f64 v[24:25], v[48:49], 2.0, v[8:9]
	v_fma_f64 v[28:29], v[32:33], 2.0, v[12:13]
	v_fma_f64 v[30:31], v[26:27], -2.0, v[14:15]
	v_fma_f64 v[26:27], v[46:47], -2.0, v[10:11]
	v_fma_f64 v[20:21], v[42:43], 2.0, v[0:1]
	v_fma_f64 v[22:23], v[40:41], -2.0, v[2:3]
	v_fma_f64 v[32:33], v[36:37], 2.0, v[16:17]
	v_fma_f64 v[34:35], v[38:39], -2.0, v[18:19]
	ds_store_b128 v255, v[4:7]
	ds_store_b128 v255, v[8:11] offset:1904
	ds_store_b128 v255, v[16:19] offset:3808
	;; [unrolled: 1-line block ×8, first 2 shown]
	s_waitcnt lgkmcnt(0)
	s_barrier
	buffer_gl0_inv
	s_and_b32 exec_lo, exec_lo, vcc_lo
	s_cbranch_execz .LBB0_23
; %bb.22:
	global_load_b128 v[0:3], v255, s[12:13]
	ds_load_b128 v[4:7], v255
	ds_load_b128 v[8:11], v255 offset:1008
	ds_load_b128 v[12:15], v255 offset:16128
	s_mov_b32 s0, 0x1e98801f
	s_mov_b32 s1, 0x3f4e9880
	s_mul_i32 s2, s5, 0x3f0
	s_mul_hi_u32 s3, s4, 0x3f0
	scratch_load_b32 v20, off, off          ; 4-byte Folded Reload
	s_add_i32 s3, s3, s2
	v_add_co_u32 v22, s2, s12, v255
	s_delay_alu instid0(VALU_DEP_1) | instskip(SKIP_3) | instid1(VALU_DEP_2)
	v_add_co_ci_u32_e64 v23, null, s13, 0, s2
	s_waitcnt vmcnt(1) lgkmcnt(2)
	v_mul_f64 v[16:17], v[6:7], v[2:3]
	v_mul_f64 v[2:3], v[4:5], v[2:3]
	v_fma_f64 v[4:5], v[4:5], v[0:1], v[16:17]
	s_delay_alu instid0(VALU_DEP_2)
	v_fma_f64 v[2:3], v[0:1], v[6:7], -v[2:3]
	scratch_load_b64 v[0:1], off, off offset:4 ; 8-byte Folded Reload
	s_waitcnt vmcnt(1)
	v_mad_u64_u32 v[16:17], null, s4, v20, 0
	s_mulk_i32 s4, 0x3f0
	v_mul_f64 v[2:3], v[2:3], s[0:1]
	s_waitcnt vmcnt(0)
	v_mov_b32_e32 v19, v0
	v_mul_f64 v[0:1], v[4:5], s[0:1]
	s_delay_alu instid0(VALU_DEP_4) | instskip(NEXT) | instid1(VALU_DEP_3)
	v_mov_b32_e32 v5, v17
	v_mad_u64_u32 v[6:7], null, s6, v19, 0
	s_delay_alu instid0(VALU_DEP_1) | instskip(NEXT) | instid1(VALU_DEP_1)
	v_mov_b32_e32 v4, v7
	v_mad_u64_u32 v[17:18], null, s7, v19, v[4:5]
	s_delay_alu instid0(VALU_DEP_3) | instskip(NEXT) | instid1(VALU_DEP_2)
	v_mad_u64_u32 v[18:19], null, s5, v20, v[5:6]
	v_mov_b32_e32 v7, v17
	s_delay_alu instid0(VALU_DEP_2) | instskip(NEXT) | instid1(VALU_DEP_2)
	v_mov_b32_e32 v17, v18
	v_lshlrev_b64 v[4:5], 4, v[6:7]
	s_delay_alu instid0(VALU_DEP_2) | instskip(NEXT) | instid1(VALU_DEP_2)
	v_lshlrev_b64 v[6:7], 4, v[16:17]
	v_add_co_u32 v4, vcc_lo, s14, v4
	s_delay_alu instid0(VALU_DEP_3) | instskip(NEXT) | instid1(VALU_DEP_2)
	v_add_co_ci_u32_e32 v5, vcc_lo, s15, v5, vcc_lo
	v_add_co_u32 v4, vcc_lo, v4, v6
	s_delay_alu instid0(VALU_DEP_2) | instskip(NEXT) | instid1(VALU_DEP_2)
	v_add_co_ci_u32_e32 v5, vcc_lo, v5, v7, vcc_lo
	v_add_co_u32 v16, vcc_lo, v4, s4
	global_store_b128 v[4:5], v[0:3], off
	global_load_b128 v[0:3], v255, s[12:13] offset:1008
	v_add_co_ci_u32_e32 v17, vcc_lo, s3, v5, vcc_lo
	s_waitcnt vmcnt(0) lgkmcnt(1)
	v_mul_f64 v[6:7], v[10:11], v[2:3]
	v_mul_f64 v[2:3], v[8:9], v[2:3]
	s_delay_alu instid0(VALU_DEP_2) | instskip(NEXT) | instid1(VALU_DEP_2)
	v_fma_f64 v[6:7], v[8:9], v[0:1], v[6:7]
	v_fma_f64 v[2:3], v[0:1], v[10:11], -v[2:3]
	s_delay_alu instid0(VALU_DEP_2) | instskip(NEXT) | instid1(VALU_DEP_2)
	v_mul_f64 v[0:1], v[6:7], s[0:1]
	v_mul_f64 v[2:3], v[2:3], s[0:1]
	global_store_b128 v[16:17], v[0:3], off
	global_load_b128 v[0:3], v255, s[12:13] offset:2016
	ds_load_b128 v[4:7], v255 offset:2016
	ds_load_b128 v[8:11], v255 offset:3024
	s_waitcnt vmcnt(0) lgkmcnt(1)
	v_mul_f64 v[18:19], v[6:7], v[2:3]
	v_mul_f64 v[2:3], v[4:5], v[2:3]
	s_delay_alu instid0(VALU_DEP_2) | instskip(NEXT) | instid1(VALU_DEP_2)
	v_fma_f64 v[4:5], v[4:5], v[0:1], v[18:19]
	v_fma_f64 v[2:3], v[0:1], v[6:7], -v[2:3]
	s_delay_alu instid0(VALU_DEP_2) | instskip(NEXT) | instid1(VALU_DEP_2)
	v_mul_f64 v[0:1], v[4:5], s[0:1]
	v_mul_f64 v[2:3], v[2:3], s[0:1]
	v_add_co_u32 v4, vcc_lo, v16, s4
	v_add_co_ci_u32_e32 v5, vcc_lo, s3, v17, vcc_lo
	s_delay_alu instid0(VALU_DEP_2) | instskip(NEXT) | instid1(VALU_DEP_2)
	v_add_co_u32 v16, vcc_lo, v4, s4
	v_add_co_ci_u32_e32 v17, vcc_lo, s3, v5, vcc_lo
	global_store_b128 v[4:5], v[0:3], off
	global_load_b128 v[0:3], v255, s[12:13] offset:3024
	s_waitcnt vmcnt(0) lgkmcnt(0)
	v_mul_f64 v[6:7], v[10:11], v[2:3]
	v_mul_f64 v[2:3], v[8:9], v[2:3]
	s_delay_alu instid0(VALU_DEP_2) | instskip(NEXT) | instid1(VALU_DEP_2)
	v_fma_f64 v[6:7], v[8:9], v[0:1], v[6:7]
	v_fma_f64 v[2:3], v[0:1], v[10:11], -v[2:3]
	s_delay_alu instid0(VALU_DEP_2) | instskip(NEXT) | instid1(VALU_DEP_2)
	v_mul_f64 v[0:1], v[6:7], s[0:1]
	v_mul_f64 v[2:3], v[2:3], s[0:1]
	global_store_b128 v[16:17], v[0:3], off
	global_load_b128 v[0:3], v255, s[12:13] offset:4032
	ds_load_b128 v[4:7], v255 offset:4032
	ds_load_b128 v[8:11], v255 offset:5040
	s_waitcnt vmcnt(0) lgkmcnt(1)
	v_mul_f64 v[18:19], v[6:7], v[2:3]
	v_mul_f64 v[2:3], v[4:5], v[2:3]
	s_delay_alu instid0(VALU_DEP_2) | instskip(NEXT) | instid1(VALU_DEP_2)
	v_fma_f64 v[4:5], v[4:5], v[0:1], v[18:19]
	v_fma_f64 v[2:3], v[0:1], v[6:7], -v[2:3]
	s_delay_alu instid0(VALU_DEP_2) | instskip(NEXT) | instid1(VALU_DEP_2)
	v_mul_f64 v[0:1], v[4:5], s[0:1]
	v_mul_f64 v[2:3], v[2:3], s[0:1]
	v_add_co_u32 v4, vcc_lo, v16, s4
	v_add_co_ci_u32_e32 v5, vcc_lo, s3, v17, vcc_lo
	v_add_co_u32 v16, vcc_lo, 0x1000, v22
	v_add_co_ci_u32_e32 v17, vcc_lo, 0, v23, vcc_lo
	s_delay_alu instid0(VALU_DEP_4) | instskip(NEXT) | instid1(VALU_DEP_4)
	v_add_co_u32 v18, vcc_lo, v4, s4
	v_add_co_ci_u32_e32 v19, vcc_lo, s3, v5, vcc_lo
	global_store_b128 v[4:5], v[0:3], off
	global_load_b128 v[0:3], v[16:17], off offset:944
	s_waitcnt vmcnt(0) lgkmcnt(0)
	v_mul_f64 v[6:7], v[10:11], v[2:3]
	v_mul_f64 v[2:3], v[8:9], v[2:3]
	s_delay_alu instid0(VALU_DEP_2) | instskip(NEXT) | instid1(VALU_DEP_2)
	v_fma_f64 v[6:7], v[8:9], v[0:1], v[6:7]
	v_fma_f64 v[2:3], v[0:1], v[10:11], -v[2:3]
	s_delay_alu instid0(VALU_DEP_2) | instskip(NEXT) | instid1(VALU_DEP_2)
	v_mul_f64 v[0:1], v[6:7], s[0:1]
	v_mul_f64 v[2:3], v[2:3], s[0:1]
	global_store_b128 v[18:19], v[0:3], off
	global_load_b128 v[0:3], v[16:17], off offset:1952
	ds_load_b128 v[4:7], v255 offset:6048
	ds_load_b128 v[8:11], v255 offset:7056
	s_waitcnt vmcnt(0) lgkmcnt(1)
	v_mul_f64 v[20:21], v[6:7], v[2:3]
	v_mul_f64 v[2:3], v[4:5], v[2:3]
	s_delay_alu instid0(VALU_DEP_2) | instskip(NEXT) | instid1(VALU_DEP_2)
	v_fma_f64 v[4:5], v[4:5], v[0:1], v[20:21]
	v_fma_f64 v[2:3], v[0:1], v[6:7], -v[2:3]
	s_delay_alu instid0(VALU_DEP_2) | instskip(NEXT) | instid1(VALU_DEP_2)
	v_mul_f64 v[0:1], v[4:5], s[0:1]
	v_mul_f64 v[2:3], v[2:3], s[0:1]
	v_add_co_u32 v4, vcc_lo, v18, s4
	v_add_co_ci_u32_e32 v5, vcc_lo, s3, v19, vcc_lo
	s_delay_alu instid0(VALU_DEP_2) | instskip(NEXT) | instid1(VALU_DEP_2)
	v_add_co_u32 v18, vcc_lo, v4, s4
	v_add_co_ci_u32_e32 v19, vcc_lo, s3, v5, vcc_lo
	global_store_b128 v[4:5], v[0:3], off
	global_load_b128 v[0:3], v[16:17], off offset:2960
	s_waitcnt vmcnt(0) lgkmcnt(0)
	v_mul_f64 v[6:7], v[10:11], v[2:3]
	v_mul_f64 v[2:3], v[8:9], v[2:3]
	s_delay_alu instid0(VALU_DEP_2) | instskip(NEXT) | instid1(VALU_DEP_2)
	v_fma_f64 v[6:7], v[8:9], v[0:1], v[6:7]
	v_fma_f64 v[2:3], v[0:1], v[10:11], -v[2:3]
	s_delay_alu instid0(VALU_DEP_2) | instskip(NEXT) | instid1(VALU_DEP_2)
	v_mul_f64 v[0:1], v[6:7], s[0:1]
	v_mul_f64 v[2:3], v[2:3], s[0:1]
	global_store_b128 v[18:19], v[0:3], off
	global_load_b128 v[0:3], v[16:17], off offset:3968
	ds_load_b128 v[4:7], v255 offset:8064
	ds_load_b128 v[8:11], v255 offset:9072
	s_waitcnt vmcnt(0) lgkmcnt(1)
	v_mul_f64 v[16:17], v[6:7], v[2:3]
	v_mul_f64 v[2:3], v[4:5], v[2:3]
	s_delay_alu instid0(VALU_DEP_2) | instskip(NEXT) | instid1(VALU_DEP_2)
	v_fma_f64 v[4:5], v[4:5], v[0:1], v[16:17]
	v_fma_f64 v[2:3], v[0:1], v[6:7], -v[2:3]
	s_delay_alu instid0(VALU_DEP_2) | instskip(NEXT) | instid1(VALU_DEP_2)
	v_mul_f64 v[0:1], v[4:5], s[0:1]
	v_mul_f64 v[2:3], v[2:3], s[0:1]
	v_add_co_u32 v4, vcc_lo, v18, s4
	v_add_co_ci_u32_e32 v5, vcc_lo, s3, v19, vcc_lo
	v_add_co_u32 v16, vcc_lo, 0x2000, v22
	v_add_co_ci_u32_e32 v17, vcc_lo, 0, v23, vcc_lo
	s_delay_alu instid0(VALU_DEP_4) | instskip(NEXT) | instid1(VALU_DEP_4)
	v_add_co_u32 v18, vcc_lo, v4, s4
	v_add_co_ci_u32_e32 v19, vcc_lo, s3, v5, vcc_lo
	global_store_b128 v[4:5], v[0:3], off
	global_load_b128 v[0:3], v[16:17], off offset:880
	s_waitcnt vmcnt(0) lgkmcnt(0)
	v_mul_f64 v[6:7], v[10:11], v[2:3]
	v_mul_f64 v[2:3], v[8:9], v[2:3]
	s_delay_alu instid0(VALU_DEP_2) | instskip(NEXT) | instid1(VALU_DEP_2)
	v_fma_f64 v[6:7], v[8:9], v[0:1], v[6:7]
	v_fma_f64 v[2:3], v[0:1], v[10:11], -v[2:3]
	s_delay_alu instid0(VALU_DEP_2) | instskip(NEXT) | instid1(VALU_DEP_2)
	v_mul_f64 v[0:1], v[6:7], s[0:1]
	v_mul_f64 v[2:3], v[2:3], s[0:1]
	global_store_b128 v[18:19], v[0:3], off
	global_load_b128 v[0:3], v[16:17], off offset:1888
	ds_load_b128 v[4:7], v255 offset:10080
	ds_load_b128 v[8:11], v255 offset:11088
	s_waitcnt vmcnt(0) lgkmcnt(1)
	v_mul_f64 v[20:21], v[6:7], v[2:3]
	v_mul_f64 v[2:3], v[4:5], v[2:3]
	s_delay_alu instid0(VALU_DEP_2) | instskip(NEXT) | instid1(VALU_DEP_2)
	v_fma_f64 v[4:5], v[4:5], v[0:1], v[20:21]
	v_fma_f64 v[2:3], v[0:1], v[6:7], -v[2:3]
	s_delay_alu instid0(VALU_DEP_2) | instskip(NEXT) | instid1(VALU_DEP_2)
	v_mul_f64 v[0:1], v[4:5], s[0:1]
	v_mul_f64 v[2:3], v[2:3], s[0:1]
	v_add_co_u32 v4, vcc_lo, v18, s4
	v_add_co_ci_u32_e32 v5, vcc_lo, s3, v19, vcc_lo
	s_delay_alu instid0(VALU_DEP_2) | instskip(NEXT) | instid1(VALU_DEP_2)
	v_add_co_u32 v18, vcc_lo, v4, s4
	v_add_co_ci_u32_e32 v19, vcc_lo, s3, v5, vcc_lo
	global_store_b128 v[4:5], v[0:3], off
	global_load_b128 v[0:3], v[16:17], off offset:2896
	s_waitcnt vmcnt(0) lgkmcnt(0)
	v_mul_f64 v[6:7], v[10:11], v[2:3]
	v_mul_f64 v[2:3], v[8:9], v[2:3]
	s_delay_alu instid0(VALU_DEP_2) | instskip(NEXT) | instid1(VALU_DEP_2)
	v_fma_f64 v[6:7], v[8:9], v[0:1], v[6:7]
	v_fma_f64 v[2:3], v[0:1], v[10:11], -v[2:3]
	s_delay_alu instid0(VALU_DEP_2) | instskip(NEXT) | instid1(VALU_DEP_2)
	v_mul_f64 v[0:1], v[6:7], s[0:1]
	v_mul_f64 v[2:3], v[2:3], s[0:1]
	global_store_b128 v[18:19], v[0:3], off
	global_load_b128 v[0:3], v[16:17], off offset:3904
	ds_load_b128 v[4:7], v255 offset:12096
	ds_load_b128 v[8:11], v255 offset:13104
	s_waitcnt vmcnt(0) lgkmcnt(1)
	v_mul_f64 v[16:17], v[6:7], v[2:3]
	v_mul_f64 v[2:3], v[4:5], v[2:3]
	s_delay_alu instid0(VALU_DEP_2) | instskip(NEXT) | instid1(VALU_DEP_2)
	v_fma_f64 v[4:5], v[4:5], v[0:1], v[16:17]
	v_fma_f64 v[2:3], v[0:1], v[6:7], -v[2:3]
	s_delay_alu instid0(VALU_DEP_2) | instskip(NEXT) | instid1(VALU_DEP_2)
	v_mul_f64 v[0:1], v[4:5], s[0:1]
	v_mul_f64 v[2:3], v[2:3], s[0:1]
	v_add_co_u32 v4, vcc_lo, v18, s4
	v_add_co_ci_u32_e32 v5, vcc_lo, s3, v19, vcc_lo
	v_add_co_u32 v16, vcc_lo, 0x3000, v22
	v_add_co_ci_u32_e32 v17, vcc_lo, 0, v23, vcc_lo
	s_delay_alu instid0(VALU_DEP_4) | instskip(NEXT) | instid1(VALU_DEP_4)
	v_add_co_u32 v18, vcc_lo, v4, s4
	v_add_co_ci_u32_e32 v19, vcc_lo, s3, v5, vcc_lo
	global_store_b128 v[4:5], v[0:3], off
	global_load_b128 v[0:3], v[16:17], off offset:816
	s_waitcnt vmcnt(0) lgkmcnt(0)
	v_mul_f64 v[6:7], v[10:11], v[2:3]
	v_mul_f64 v[2:3], v[8:9], v[2:3]
	s_delay_alu instid0(VALU_DEP_2) | instskip(NEXT) | instid1(VALU_DEP_2)
	v_fma_f64 v[6:7], v[8:9], v[0:1], v[6:7]
	v_fma_f64 v[2:3], v[0:1], v[10:11], -v[2:3]
	s_delay_alu instid0(VALU_DEP_2) | instskip(NEXT) | instid1(VALU_DEP_2)
	v_mul_f64 v[0:1], v[6:7], s[0:1]
	v_mul_f64 v[2:3], v[2:3], s[0:1]
	global_store_b128 v[18:19], v[0:3], off
	global_load_b128 v[0:3], v[16:17], off offset:1824
	ds_load_b128 v[4:7], v255 offset:14112
	ds_load_b128 v[8:11], v255 offset:15120
	s_waitcnt vmcnt(0) lgkmcnt(1)
	v_mul_f64 v[20:21], v[6:7], v[2:3]
	v_mul_f64 v[2:3], v[4:5], v[2:3]
	s_delay_alu instid0(VALU_DEP_2) | instskip(NEXT) | instid1(VALU_DEP_2)
	v_fma_f64 v[4:5], v[4:5], v[0:1], v[20:21]
	v_fma_f64 v[2:3], v[0:1], v[6:7], -v[2:3]
	s_delay_alu instid0(VALU_DEP_2) | instskip(NEXT) | instid1(VALU_DEP_2)
	v_mul_f64 v[0:1], v[4:5], s[0:1]
	v_mul_f64 v[2:3], v[2:3], s[0:1]
	v_add_co_u32 v4, vcc_lo, v18, s4
	v_add_co_ci_u32_e32 v5, vcc_lo, s3, v19, vcc_lo
	global_store_b128 v[4:5], v[0:3], off
	global_load_b128 v[0:3], v[16:17], off offset:2832
	v_add_co_u32 v4, vcc_lo, v4, s4
	v_add_co_ci_u32_e32 v5, vcc_lo, s3, v5, vcc_lo
	s_waitcnt vmcnt(0) lgkmcnt(0)
	v_mul_f64 v[6:7], v[10:11], v[2:3]
	v_mul_f64 v[2:3], v[8:9], v[2:3]
	s_delay_alu instid0(VALU_DEP_2) | instskip(NEXT) | instid1(VALU_DEP_2)
	v_fma_f64 v[6:7], v[8:9], v[0:1], v[6:7]
	v_fma_f64 v[2:3], v[0:1], v[10:11], -v[2:3]
	s_delay_alu instid0(VALU_DEP_2) | instskip(NEXT) | instid1(VALU_DEP_2)
	v_mul_f64 v[0:1], v[6:7], s[0:1]
	v_mul_f64 v[2:3], v[2:3], s[0:1]
	global_store_b128 v[4:5], v[0:3], off
	global_load_b128 v[0:3], v[16:17], off offset:3840
	v_add_co_u32 v4, vcc_lo, v4, s4
	v_add_co_ci_u32_e32 v5, vcc_lo, s3, v5, vcc_lo
	s_waitcnt vmcnt(0)
	v_mul_f64 v[6:7], v[14:15], v[2:3]
	v_mul_f64 v[2:3], v[12:13], v[2:3]
	s_delay_alu instid0(VALU_DEP_2) | instskip(NEXT) | instid1(VALU_DEP_2)
	v_fma_f64 v[6:7], v[12:13], v[0:1], v[6:7]
	v_fma_f64 v[2:3], v[0:1], v[14:15], -v[2:3]
	s_delay_alu instid0(VALU_DEP_2) | instskip(NEXT) | instid1(VALU_DEP_2)
	v_mul_f64 v[0:1], v[6:7], s[0:1]
	v_mul_f64 v[2:3], v[2:3], s[0:1]
	global_store_b128 v[4:5], v[0:3], off
.LBB0_23:
	s_endpgm
	.section	.rodata,"a",@progbits
	.p2align	6, 0x0
	.amdhsa_kernel bluestein_single_back_len1071_dim1_dp_op_CI_CI
		.amdhsa_group_segment_fixed_size 17136
		.amdhsa_private_segment_fixed_size 484
		.amdhsa_kernarg_size 104
		.amdhsa_user_sgpr_count 15
		.amdhsa_user_sgpr_dispatch_ptr 0
		.amdhsa_user_sgpr_queue_ptr 0
		.amdhsa_user_sgpr_kernarg_segment_ptr 1
		.amdhsa_user_sgpr_dispatch_id 0
		.amdhsa_user_sgpr_private_segment_size 0
		.amdhsa_wavefront_size32 1
		.amdhsa_uses_dynamic_stack 0
		.amdhsa_enable_private_segment 1
		.amdhsa_system_sgpr_workgroup_id_x 1
		.amdhsa_system_sgpr_workgroup_id_y 0
		.amdhsa_system_sgpr_workgroup_id_z 0
		.amdhsa_system_sgpr_workgroup_info 0
		.amdhsa_system_vgpr_workitem_id 0
		.amdhsa_next_free_vgpr 256
		.amdhsa_next_free_sgpr 60
		.amdhsa_reserve_vcc 1
		.amdhsa_float_round_mode_32 0
		.amdhsa_float_round_mode_16_64 0
		.amdhsa_float_denorm_mode_32 3
		.amdhsa_float_denorm_mode_16_64 3
		.amdhsa_dx10_clamp 1
		.amdhsa_ieee_mode 1
		.amdhsa_fp16_overflow 0
		.amdhsa_workgroup_processor_mode 1
		.amdhsa_memory_ordered 1
		.amdhsa_forward_progress 0
		.amdhsa_shared_vgpr_count 0
		.amdhsa_exception_fp_ieee_invalid_op 0
		.amdhsa_exception_fp_denorm_src 0
		.amdhsa_exception_fp_ieee_div_zero 0
		.amdhsa_exception_fp_ieee_overflow 0
		.amdhsa_exception_fp_ieee_underflow 0
		.amdhsa_exception_fp_ieee_inexact 0
		.amdhsa_exception_int_div_zero 0
	.end_amdhsa_kernel
	.text
.Lfunc_end0:
	.size	bluestein_single_back_len1071_dim1_dp_op_CI_CI, .Lfunc_end0-bluestein_single_back_len1071_dim1_dp_op_CI_CI
                                        ; -- End function
	.section	.AMDGPU.csdata,"",@progbits
; Kernel info:
; codeLenInByte = 29460
; NumSgprs: 62
; NumVgprs: 256
; ScratchSize: 484
; MemoryBound: 0
; FloatMode: 240
; IeeeMode: 1
; LDSByteSize: 17136 bytes/workgroup (compile time only)
; SGPRBlocks: 7
; VGPRBlocks: 31
; NumSGPRsForWavesPerEU: 62
; NumVGPRsForWavesPerEU: 256
; Occupancy: 5
; WaveLimiterHint : 1
; COMPUTE_PGM_RSRC2:SCRATCH_EN: 1
; COMPUTE_PGM_RSRC2:USER_SGPR: 15
; COMPUTE_PGM_RSRC2:TRAP_HANDLER: 0
; COMPUTE_PGM_RSRC2:TGID_X_EN: 1
; COMPUTE_PGM_RSRC2:TGID_Y_EN: 0
; COMPUTE_PGM_RSRC2:TGID_Z_EN: 0
; COMPUTE_PGM_RSRC2:TIDIG_COMP_CNT: 0
	.text
	.p2alignl 7, 3214868480
	.fill 96, 4, 3214868480
	.type	__hip_cuid_2a925ed73b44d385,@object ; @__hip_cuid_2a925ed73b44d385
	.section	.bss,"aw",@nobits
	.globl	__hip_cuid_2a925ed73b44d385
__hip_cuid_2a925ed73b44d385:
	.byte	0                               ; 0x0
	.size	__hip_cuid_2a925ed73b44d385, 1

	.ident	"AMD clang version 19.0.0git (https://github.com/RadeonOpenCompute/llvm-project roc-6.4.0 25133 c7fe45cf4b819c5991fe208aaa96edf142730f1d)"
	.section	".note.GNU-stack","",@progbits
	.addrsig
	.addrsig_sym __hip_cuid_2a925ed73b44d385
	.amdgpu_metadata
---
amdhsa.kernels:
  - .args:
      - .actual_access:  read_only
        .address_space:  global
        .offset:         0
        .size:           8
        .value_kind:     global_buffer
      - .actual_access:  read_only
        .address_space:  global
        .offset:         8
        .size:           8
        .value_kind:     global_buffer
      - .actual_access:  read_only
        .address_space:  global
        .offset:         16
        .size:           8
        .value_kind:     global_buffer
      - .actual_access:  read_only
        .address_space:  global
        .offset:         24
        .size:           8
        .value_kind:     global_buffer
      - .actual_access:  read_only
        .address_space:  global
        .offset:         32
        .size:           8
        .value_kind:     global_buffer
      - .offset:         40
        .size:           8
        .value_kind:     by_value
      - .address_space:  global
        .offset:         48
        .size:           8
        .value_kind:     global_buffer
      - .address_space:  global
        .offset:         56
        .size:           8
        .value_kind:     global_buffer
      - .address_space:  global
        .offset:         64
        .size:           8
        .value_kind:     global_buffer
      - .address_space:  global
        .offset:         72
        .size:           8
        .value_kind:     global_buffer
      - .offset:         80
        .size:           4
        .value_kind:     by_value
      - .address_space:  global
        .offset:         88
        .size:           8
        .value_kind:     global_buffer
      - .address_space:  global
        .offset:         96
        .size:           8
        .value_kind:     global_buffer
    .group_segment_fixed_size: 17136
    .kernarg_segment_align: 8
    .kernarg_segment_size: 104
    .language:       OpenCL C
    .language_version:
      - 2
      - 0
    .max_flat_workgroup_size: 119
    .name:           bluestein_single_back_len1071_dim1_dp_op_CI_CI
    .private_segment_fixed_size: 484
    .sgpr_count:     62
    .sgpr_spill_count: 0
    .symbol:         bluestein_single_back_len1071_dim1_dp_op_CI_CI.kd
    .uniform_work_group_size: 1
    .uses_dynamic_stack: false
    .vgpr_count:     256
    .vgpr_spill_count: 206
    .wavefront_size: 32
    .workgroup_processor_mode: 1
amdhsa.target:   amdgcn-amd-amdhsa--gfx1100
amdhsa.version:
  - 1
  - 2
...

	.end_amdgpu_metadata
